;; amdgpu-corpus repo=ROCm/rocFFT kind=compiled arch=gfx906 opt=O3
	.text
	.amdgcn_target "amdgcn-amd-amdhsa--gfx906"
	.amdhsa_code_object_version 6
	.protected	fft_rtc_back_len4000_factors_10_10_10_4_wgs_200_tpt_200_halfLds_dp_op_CI_CI_sbrr_dirReg ; -- Begin function fft_rtc_back_len4000_factors_10_10_10_4_wgs_200_tpt_200_halfLds_dp_op_CI_CI_sbrr_dirReg
	.globl	fft_rtc_back_len4000_factors_10_10_10_4_wgs_200_tpt_200_halfLds_dp_op_CI_CI_sbrr_dirReg
	.p2align	8
	.type	fft_rtc_back_len4000_factors_10_10_10_4_wgs_200_tpt_200_halfLds_dp_op_CI_CI_sbrr_dirReg,@function
fft_rtc_back_len4000_factors_10_10_10_4_wgs_200_tpt_200_halfLds_dp_op_CI_CI_sbrr_dirReg: ; @fft_rtc_back_len4000_factors_10_10_10_4_wgs_200_tpt_200_halfLds_dp_op_CI_CI_sbrr_dirReg
; %bb.0:
	s_load_dwordx4 s[16:19], s[4:5], 0x18
	s_load_dwordx4 s[12:15], s[4:5], 0x0
	;; [unrolled: 1-line block ×3, first 2 shown]
	v_mul_u32_u24_e32 v1, 0x148, v0
	v_add_u32_sdwa v6, s6, v1 dst_sel:DWORD dst_unused:UNUSED_PAD src0_sel:DWORD src1_sel:WORD_1
	s_waitcnt lgkmcnt(0)
	s_load_dwordx2 s[20:21], s[16:17], 0x0
	s_load_dwordx2 s[2:3], s[18:19], 0x0
	v_cmp_lt_u64_e64 s[0:1], s[14:15], 2
	v_mov_b32_e32 v1, 0
	v_mov_b32_e32 v4, 0
	;; [unrolled: 1-line block ×3, first 2 shown]
	s_and_b64 vcc, exec, s[0:1]
	v_mov_b32_e32 v5, 0
	s_cbranch_vccnz .LBB0_8
; %bb.1:
	s_load_dwordx2 s[0:1], s[4:5], 0x10
	s_add_u32 s6, s18, 8
	s_addc_u32 s7, s19, 0
	s_add_u32 s22, s16, 8
	v_mov_b32_e32 v4, 0
	s_addc_u32 s23, s17, 0
	v_mov_b32_e32 v5, 0
	s_waitcnt lgkmcnt(0)
	s_add_u32 s24, s0, 8
	v_mov_b32_e32 v81, v5
	s_addc_u32 s25, s1, 0
	s_mov_b64 s[26:27], 1
	v_mov_b32_e32 v80, v4
.LBB0_2:                                ; =>This Inner Loop Header: Depth=1
	s_load_dwordx2 s[28:29], s[24:25], 0x0
                                        ; implicit-def: $vgpr82_vgpr83
	s_waitcnt lgkmcnt(0)
	v_or_b32_e32 v2, s29, v7
	v_cmp_ne_u64_e32 vcc, 0, v[1:2]
	s_and_saveexec_b64 s[0:1], vcc
	s_xor_b64 s[30:31], exec, s[0:1]
	s_cbranch_execz .LBB0_4
; %bb.3:                                ;   in Loop: Header=BB0_2 Depth=1
	v_cvt_f32_u32_e32 v2, s28
	v_cvt_f32_u32_e32 v3, s29
	s_sub_u32 s0, 0, s28
	s_subb_u32 s1, 0, s29
	v_mac_f32_e32 v2, 0x4f800000, v3
	v_rcp_f32_e32 v2, v2
	v_mul_f32_e32 v2, 0x5f7ffffc, v2
	v_mul_f32_e32 v3, 0x2f800000, v2
	v_trunc_f32_e32 v3, v3
	v_mac_f32_e32 v2, 0xcf800000, v3
	v_cvt_u32_f32_e32 v3, v3
	v_cvt_u32_f32_e32 v2, v2
	v_mul_lo_u32 v8, s0, v3
	v_mul_hi_u32 v9, s0, v2
	v_mul_lo_u32 v11, s1, v2
	v_mul_lo_u32 v10, s0, v2
	v_add_u32_e32 v8, v9, v8
	v_add_u32_e32 v8, v8, v11
	v_mul_hi_u32 v9, v2, v10
	v_mul_lo_u32 v11, v2, v8
	v_mul_hi_u32 v13, v2, v8
	v_mul_hi_u32 v12, v3, v10
	v_mul_lo_u32 v10, v3, v10
	v_mul_hi_u32 v14, v3, v8
	v_add_co_u32_e32 v9, vcc, v9, v11
	v_addc_co_u32_e32 v11, vcc, 0, v13, vcc
	v_mul_lo_u32 v8, v3, v8
	v_add_co_u32_e32 v9, vcc, v9, v10
	v_addc_co_u32_e32 v9, vcc, v11, v12, vcc
	v_addc_co_u32_e32 v10, vcc, 0, v14, vcc
	v_add_co_u32_e32 v8, vcc, v9, v8
	v_addc_co_u32_e32 v9, vcc, 0, v10, vcc
	v_add_co_u32_e32 v2, vcc, v2, v8
	v_addc_co_u32_e32 v3, vcc, v3, v9, vcc
	v_mul_lo_u32 v8, s0, v3
	v_mul_hi_u32 v9, s0, v2
	v_mul_lo_u32 v10, s1, v2
	v_mul_lo_u32 v11, s0, v2
	v_add_u32_e32 v8, v9, v8
	v_add_u32_e32 v8, v8, v10
	v_mul_lo_u32 v12, v2, v8
	v_mul_hi_u32 v13, v2, v11
	v_mul_hi_u32 v14, v2, v8
	;; [unrolled: 1-line block ×3, first 2 shown]
	v_mul_lo_u32 v11, v3, v11
	v_mul_hi_u32 v9, v3, v8
	v_add_co_u32_e32 v12, vcc, v13, v12
	v_addc_co_u32_e32 v13, vcc, 0, v14, vcc
	v_mul_lo_u32 v8, v3, v8
	v_add_co_u32_e32 v11, vcc, v12, v11
	v_addc_co_u32_e32 v10, vcc, v13, v10, vcc
	v_addc_co_u32_e32 v9, vcc, 0, v9, vcc
	v_add_co_u32_e32 v8, vcc, v10, v8
	v_addc_co_u32_e32 v9, vcc, 0, v9, vcc
	v_add_co_u32_e32 v8, vcc, v2, v8
	v_addc_co_u32_e32 v9, vcc, v3, v9, vcc
	v_mad_u64_u32 v[2:3], s[0:1], v6, v9, 0
	v_mul_hi_u32 v10, v6, v8
	v_add_co_u32_e32 v10, vcc, v10, v2
	v_addc_co_u32_e32 v11, vcc, 0, v3, vcc
	v_mad_u64_u32 v[2:3], s[0:1], v7, v8, 0
	v_mad_u64_u32 v[8:9], s[0:1], v7, v9, 0
	v_add_co_u32_e32 v2, vcc, v10, v2
	v_addc_co_u32_e32 v2, vcc, v11, v3, vcc
	v_addc_co_u32_e32 v3, vcc, 0, v9, vcc
	v_add_co_u32_e32 v8, vcc, v2, v8
	v_addc_co_u32_e32 v9, vcc, 0, v3, vcc
	v_mul_lo_u32 v10, s29, v8
	v_mul_lo_u32 v11, s28, v9
	v_mad_u64_u32 v[2:3], s[0:1], s28, v8, 0
	v_add3_u32 v3, v3, v11, v10
	v_sub_u32_e32 v10, v7, v3
	v_mov_b32_e32 v11, s29
	v_sub_co_u32_e32 v2, vcc, v6, v2
	v_subb_co_u32_e64 v10, s[0:1], v10, v11, vcc
	v_subrev_co_u32_e64 v11, s[0:1], s28, v2
	v_subbrev_co_u32_e64 v10, s[0:1], 0, v10, s[0:1]
	v_cmp_le_u32_e64 s[0:1], s29, v10
	v_cndmask_b32_e64 v12, 0, -1, s[0:1]
	v_cmp_le_u32_e64 s[0:1], s28, v11
	v_cndmask_b32_e64 v11, 0, -1, s[0:1]
	v_cmp_eq_u32_e64 s[0:1], s29, v10
	v_cndmask_b32_e64 v10, v12, v11, s[0:1]
	v_add_co_u32_e64 v11, s[0:1], 2, v8
	v_addc_co_u32_e64 v12, s[0:1], 0, v9, s[0:1]
	v_add_co_u32_e64 v13, s[0:1], 1, v8
	v_addc_co_u32_e64 v14, s[0:1], 0, v9, s[0:1]
	v_subb_co_u32_e32 v3, vcc, v7, v3, vcc
	v_cmp_ne_u32_e64 s[0:1], 0, v10
	v_cmp_le_u32_e32 vcc, s29, v3
	v_cndmask_b32_e64 v10, v14, v12, s[0:1]
	v_cndmask_b32_e64 v12, 0, -1, vcc
	v_cmp_le_u32_e32 vcc, s28, v2
	v_cndmask_b32_e64 v2, 0, -1, vcc
	v_cmp_eq_u32_e32 vcc, s29, v3
	v_cndmask_b32_e32 v2, v12, v2, vcc
	v_cmp_ne_u32_e32 vcc, 0, v2
	v_cndmask_b32_e64 v2, v13, v11, s[0:1]
	v_cndmask_b32_e32 v83, v9, v10, vcc
	v_cndmask_b32_e32 v82, v8, v2, vcc
.LBB0_4:                                ;   in Loop: Header=BB0_2 Depth=1
	s_andn2_saveexec_b64 s[0:1], s[30:31]
	s_cbranch_execz .LBB0_6
; %bb.5:                                ;   in Loop: Header=BB0_2 Depth=1
	v_cvt_f32_u32_e32 v2, s28
	s_sub_i32 s30, 0, s28
	v_mov_b32_e32 v83, v1
	v_rcp_iflag_f32_e32 v2, v2
	v_mul_f32_e32 v2, 0x4f7ffffe, v2
	v_cvt_u32_f32_e32 v2, v2
	v_mul_lo_u32 v3, s30, v2
	v_mul_hi_u32 v3, v2, v3
	v_add_u32_e32 v2, v2, v3
	v_mul_hi_u32 v2, v6, v2
	v_mul_lo_u32 v3, v2, s28
	v_add_u32_e32 v8, 1, v2
	v_sub_u32_e32 v3, v6, v3
	v_subrev_u32_e32 v9, s28, v3
	v_cmp_le_u32_e32 vcc, s28, v3
	v_cndmask_b32_e32 v3, v3, v9, vcc
	v_cndmask_b32_e32 v2, v2, v8, vcc
	v_add_u32_e32 v8, 1, v2
	v_cmp_le_u32_e32 vcc, s28, v3
	v_cndmask_b32_e32 v82, v2, v8, vcc
.LBB0_6:                                ;   in Loop: Header=BB0_2 Depth=1
	s_or_b64 exec, exec, s[0:1]
	v_mul_lo_u32 v8, v83, s28
	v_mul_lo_u32 v9, v82, s29
	v_mad_u64_u32 v[2:3], s[0:1], v82, s28, 0
	s_load_dwordx2 s[0:1], s[22:23], 0x0
	s_load_dwordx2 s[28:29], s[6:7], 0x0
	v_add3_u32 v3, v3, v9, v8
	v_sub_co_u32_e32 v2, vcc, v6, v2
	v_subb_co_u32_e32 v3, vcc, v7, v3, vcc
	s_waitcnt lgkmcnt(0)
	v_mul_lo_u32 v6, s0, v3
	v_mul_lo_u32 v7, s1, v2
	v_mad_u64_u32 v[4:5], s[0:1], s0, v2, v[4:5]
	v_mul_lo_u32 v3, s28, v3
	v_mul_lo_u32 v8, s29, v2
	v_mad_u64_u32 v[80:81], s[0:1], s28, v2, v[80:81]
	s_add_u32 s26, s26, 1
	s_addc_u32 s27, s27, 0
	s_add_u32 s6, s6, 8
	v_add3_u32 v81, v8, v81, v3
	s_addc_u32 s7, s7, 0
	v_mov_b32_e32 v2, s14
	s_add_u32 s22, s22, 8
	v_mov_b32_e32 v3, s15
	s_addc_u32 s23, s23, 0
	v_cmp_ge_u64_e32 vcc, s[26:27], v[2:3]
	s_add_u32 s24, s24, 8
	v_add3_u32 v5, v7, v5, v6
	s_addc_u32 s25, s25, 0
	s_cbranch_vccnz .LBB0_9
; %bb.7:                                ;   in Loop: Header=BB0_2 Depth=1
	v_mov_b32_e32 v6, v82
	v_mov_b32_e32 v7, v83
	s_branch .LBB0_2
.LBB0_8:
	v_mov_b32_e32 v81, v5
	v_mov_b32_e32 v83, v7
	;; [unrolled: 1-line block ×4, first 2 shown]
.LBB0_9:
	s_load_dwordx2 s[0:1], s[4:5], 0x28
	s_lshl_b64 s[14:15], s[14:15], 3
	s_add_u32 s4, s18, s14
	s_addc_u32 s5, s19, s15
                                        ; implicit-def: $vgpr92
                                        ; implicit-def: $vgpr93
                                        ; implicit-def: $vgpr94
                                        ; implicit-def: $vgpr95
                                        ; implicit-def: $vgpr96
	s_waitcnt lgkmcnt(0)
	v_cmp_gt_u64_e32 vcc, s[0:1], v[82:83]
	v_cmp_le_u64_e64 s[0:1], s[0:1], v[82:83]
	s_and_saveexec_b64 s[6:7], s[0:1]
	s_xor_b64 s[0:1], exec, s[6:7]
; %bb.10:
	s_mov_b32 s6, 0x147ae15
	v_mul_hi_u32 v1, v0, s6
                                        ; implicit-def: $vgpr4_vgpr5
	v_mul_u32_u24_e32 v1, 0xc8, v1
	v_sub_u32_e32 v92, v0, v1
	v_add_u32_e32 v93, 0xc8, v92
	v_add_u32_e32 v94, 0x190, v92
	;; [unrolled: 1-line block ×4, first 2 shown]
                                        ; implicit-def: $vgpr0
; %bb.11:
	s_or_saveexec_b64 s[6:7], s[0:1]
                                        ; implicit-def: $vgpr22_vgpr23
                                        ; implicit-def: $vgpr66_vgpr67
                                        ; implicit-def: $vgpr50_vgpr51
                                        ; implicit-def: $vgpr70_vgpr71
                                        ; implicit-def: $vgpr54_vgpr55
                                        ; implicit-def: $vgpr26_vgpr27
                                        ; implicit-def: $vgpr2_vgpr3
                                        ; implicit-def: $vgpr30_vgpr31
                                        ; implicit-def: $vgpr6_vgpr7
                                        ; implicit-def: $vgpr42_vgpr43
                                        ; implicit-def: $vgpr18_vgpr19
                                        ; implicit-def: $vgpr38_vgpr39
                                        ; implicit-def: $vgpr10_vgpr11
                                        ; implicit-def: $vgpr34_vgpr35
                                        ; implicit-def: $vgpr14_vgpr15
                                        ; implicit-def: $vgpr78_vgpr79
                                        ; implicit-def: $vgpr62_vgpr63
                                        ; implicit-def: $vgpr74_vgpr75
                                        ; implicit-def: $vgpr58_vgpr59
                                        ; implicit-def: $vgpr46_vgpr47
	s_xor_b64 exec, exec, s[6:7]
	s_cbranch_execz .LBB0_13
; %bb.12:
	s_add_u32 s0, s16, s14
	s_mov_b32 s14, 0x147ae15
	s_addc_u32 s1, s17, s15
	v_mul_hi_u32 v1, v0, s14
	s_load_dwordx2 s[0:1], s[0:1], 0x0
	v_mul_u32_u24_e32 v1, 0xc8, v1
	v_sub_u32_e32 v92, v0, v1
	s_waitcnt lgkmcnt(0)
	v_mul_lo_u32 v8, s1, v82
	v_mad_u64_u32 v[0:1], s[14:15], s20, v92, 0
	v_mul_lo_u32 v9, s0, v83
	v_mad_u64_u32 v[2:3], s[0:1], s0, v82, 0
	v_add_u32_e32 v94, 0x190, v92
	v_add_u32_e32 v95, 0x320, v92
	v_mad_u64_u32 v[6:7], s[0:1], s21, v92, v[1:2]
	v_add3_u32 v3, v3, v9, v8
	v_lshlrev_b64 v[2:3], 4, v[2:3]
	v_mov_b32_e32 v1, v6
	v_mov_b32_e32 v6, s9
	v_add_co_u32_e64 v7, s[0:1], s8, v2
	v_addc_co_u32_e64 v6, s[0:1], v6, v3, s[0:1]
	v_lshlrev_b64 v[2:3], 4, v[4:5]
	v_mad_u64_u32 v[4:5], s[0:1], s20, v94, 0
	v_add_co_u32_e64 v12, s[0:1], v7, v2
	v_mov_b32_e32 v2, v5
	v_addc_co_u32_e64 v13, s[0:1], v6, v3, s[0:1]
	v_mad_u64_u32 v[2:3], s[0:1], s21, v94, v[2:3]
	v_lshlrev_b64 v[0:1], 4, v[0:1]
	v_add_u32_e32 v8, 0x4b0, v92
	v_add_co_u32_e64 v0, s[0:1], v12, v0
	v_mov_b32_e32 v5, v2
	v_addc_co_u32_e64 v1, s[0:1], v13, v1, s[0:1]
	v_lshlrev_b64 v[2:3], 4, v[4:5]
	v_mad_u64_u32 v[4:5], s[0:1], s20, v95, 0
	v_add_co_u32_e64 v2, s[0:1], v12, v2
	v_addc_co_u32_e64 v3, s[0:1], v13, v3, s[0:1]
	v_mad_u64_u32 v[5:6], s[0:1], s21, v95, v[5:6]
	v_mad_u64_u32 v[6:7], s[0:1], s20, v8, 0
	global_load_dwordx4 v[44:47], v[0:1], off
	global_load_dwordx4 v[20:23], v[2:3], off
	v_lshlrev_b64 v[0:1], 4, v[4:5]
	v_mov_b32_e32 v2, v7
	v_mad_u64_u32 v[2:3], s[0:1], s21, v8, v[2:3]
	v_add_u32_e32 v8, 0x640, v92
	v_mad_u64_u32 v[3:4], s[0:1], s20, v8, 0
	v_add_co_u32_e64 v0, s[0:1], v12, v0
	v_mov_b32_e32 v7, v2
	v_mov_b32_e32 v2, v4
	v_addc_co_u32_e64 v1, s[0:1], v13, v1, s[0:1]
	v_lshlrev_b64 v[5:6], 4, v[6:7]
	v_mad_u64_u32 v[7:8], s[0:1], s21, v8, v[2:3]
	v_add_u32_e32 v10, 0x7d0, v92
	v_mad_u64_u32 v[8:9], s[0:1], s20, v10, 0
	v_mov_b32_e32 v4, v7
	v_add_co_u32_e64 v5, s[0:1], v12, v5
	v_lshlrev_b64 v[2:3], 4, v[3:4]
	v_mov_b32_e32 v4, v9
	v_addc_co_u32_e64 v6, s[0:1], v13, v6, s[0:1]
	v_mad_u64_u32 v[9:10], s[0:1], s21, v10, v[4:5]
	v_add_u32_e32 v7, 0x960, v92
	v_mad_u64_u32 v[10:11], s[0:1], s20, v7, 0
	v_add_co_u32_e64 v16, s[0:1], v12, v2
	v_mov_b32_e32 v4, v11
	v_addc_co_u32_e64 v17, s[0:1], v13, v3, s[0:1]
	v_lshlrev_b64 v[2:3], 4, v[8:9]
	v_mad_u64_u32 v[7:8], s[0:1], s21, v7, v[4:5]
	v_add_u32_e32 v14, 0xaf0, v92
	v_mad_u64_u32 v[8:9], s[0:1], s20, v14, 0
	v_add_co_u32_e64 v18, s[0:1], v12, v2
	v_mov_b32_e32 v11, v7
	v_mov_b32_e32 v4, v9
	v_addc_co_u32_e64 v19, s[0:1], v13, v3, s[0:1]
	v_lshlrev_b64 v[2:3], 4, v[10:11]
	v_mad_u64_u32 v[9:10], s[0:1], s21, v14, v[4:5]
	v_add_u32_e32 v7, 0xc80, v92
	v_mad_u64_u32 v[10:11], s[0:1], s20, v7, 0
	v_add_co_u32_e64 v84, s[0:1], v12, v2
	v_mov_b32_e32 v4, v11
	v_addc_co_u32_e64 v85, s[0:1], v13, v3, s[0:1]
	v_lshlrev_b64 v[2:3], 4, v[8:9]
	v_mad_u64_u32 v[7:8], s[0:1], s21, v7, v[4:5]
	v_add_u32_e32 v14, 0xe10, v92
	v_mad_u64_u32 v[8:9], s[0:1], s20, v14, 0
	v_add_co_u32_e64 v86, s[0:1], v12, v2
	v_mov_b32_e32 v11, v7
	v_mov_b32_e32 v4, v9
	v_addc_co_u32_e64 v87, s[0:1], v13, v3, s[0:1]
	v_lshlrev_b64 v[2:3], 4, v[10:11]
	;; [unrolled: 15-line block ×7, first 2 shown]
	v_mad_u64_u32 v[9:10], s[0:1], s21, v14, v[4:5]
	v_add_co_u32_e64 v113, s[0:1], v12, v2
	global_load_dwordx4 v[64:67], v[0:1], off
	global_load_dwordx4 v[56:59], v[5:6], off
	v_lshlrev_b64 v[0:1], 4, v[8:9]
	v_addc_co_u32_e64 v114, s[0:1], v13, v3, s[0:1]
	v_add_co_u32_e64 v115, s[0:1], v12, v0
	v_addc_co_u32_e64 v116, s[0:1], v13, v1, s[0:1]
	global_load_dwordx4 v[72:75], v[16:17], off
	global_load_dwordx4 v[48:51], v[18:19], off
	;; [unrolled: 1-line block ×15, first 2 shown]
                                        ; kill: killed $vgpr109 killed $vgpr110
                                        ; kill: killed $vgpr84 killed $vgpr85
                                        ; kill: killed $vgpr111 killed $vgpr112
                                        ; kill: killed $vgpr86 killed $vgpr87
                                        ; kill: killed $vgpr113 killed $vgpr114
                                        ; kill: killed $vgpr88 killed $vgpr89
                                        ; kill: killed $vgpr99 killed $vgpr100
                                        ; kill: killed $vgpr90 killed $vgpr91
                                        ; kill: killed $vgpr101 killed $vgpr102
                                        ; kill: killed $vgpr103 killed $vgpr104
                                        ; kill: killed $vgpr97 killed $vgpr98
                                        ; kill: killed $vgpr105 killed $vgpr106
                                        ; kill: killed $vgpr16 killed $vgpr17
                                        ; kill: killed $vgpr107 killed $vgpr108
                                        ; kill: killed $vgpr18 killed $vgpr19
	global_load_dwordx4 v[16:19], v[115:116], off
.LBB0_13:
	s_or_b64 exec, exec, s[6:7]
	s_waitcnt vmcnt(13)
	v_add_f64 v[86:87], v[68:69], v[72:73]
	s_waitcnt vmcnt(11)
	v_add_f64 v[90:91], v[66:67], -v[78:79]
	s_mov_b32 s16, 0x134454ff
	s_mov_b32 s17, 0xbfee6f0e
	;; [unrolled: 1-line block ×4, first 2 shown]
	v_add_f64 v[97:98], v[74:75], -v[70:71]
	v_add_f64 v[99:100], v[64:65], -v[72:73]
	v_fma_f64 v[88:89], v[86:87], -0.5, v[44:45]
	v_add_f64 v[101:102], v[76:77], -v[68:69]
	s_mov_b32 s18, 0x4755a5e
	s_mov_b32 s19, 0xbfe2cf23
	;; [unrolled: 1-line block ×6, first 2 shown]
	v_fma_f64 v[86:87], v[90:91], s[16:17], v[88:89]
	v_fma_f64 v[88:89], v[90:91], s[8:9], v[88:89]
	v_add_f64 v[99:100], v[101:102], v[99:100]
	v_add_f64 v[84:85], v[64:65], v[44:45]
	v_add_f64 v[101:102], v[72:73], -v[64:65]
	v_add_f64 v[103:104], v[68:69], -v[76:77]
	s_mov_b32 s20, 0x9b97f4a8
	s_mov_b32 s21, 0x3fe9e377
	v_fma_f64 v[86:87], v[97:98], s[18:19], v[86:87]
	v_fma_f64 v[88:89], v[97:98], s[6:7], v[88:89]
	s_mov_b32 s23, 0xbfd3c6ef
	v_add_f64 v[84:85], v[72:73], v[84:85]
	s_mov_b32 s22, s14
	v_add_f64 v[101:102], v[103:104], v[101:102]
	s_mov_b32 s25, 0xbfe9e377
	s_mov_b32 s24, s20
	v_fma_f64 v[86:87], v[99:100], s[14:15], v[86:87]
	v_fma_f64 v[88:89], v[99:100], s[14:15], v[88:89]
	v_add_f64 v[99:100], v[64:65], v[76:77]
	v_add_f64 v[84:85], v[68:69], v[84:85]
	v_add_f64 v[64:65], v[64:65], -v[76:77]
	v_add_f64 v[68:69], v[72:73], -v[68:69]
	s_load_dwordx2 s[4:5], s[4:5], 0x0
	s_movk_i32 s0, 0xffb8
	v_fma_f64 v[44:45], v[99:100], -0.5, v[44:45]
	v_add_f64 v[84:85], v[76:77], v[84:85]
	v_fma_f64 v[99:100], v[97:98], s[8:9], v[44:45]
	v_fma_f64 v[44:45], v[97:98], s[16:17], v[44:45]
	;; [unrolled: 1-line block ×6, first 2 shown]
	v_add_f64 v[44:45], v[66:67], v[46:47]
	v_add_f64 v[101:102], v[78:79], -v[70:71]
	v_add_f64 v[44:45], v[74:75], v[44:45]
	v_add_f64 v[44:45], v[70:71], v[44:45]
	;; [unrolled: 1-line block ×4, first 2 shown]
	v_add_f64 v[70:71], v[70:71], -v[78:79]
	v_fma_f64 v[44:45], v[44:45], -0.5, v[46:47]
	v_fma_f64 v[76:77], v[64:65], s[8:9], v[44:45]
	v_fma_f64 v[44:45], v[64:65], s[16:17], v[44:45]
	;; [unrolled: 1-line block ×3, first 2 shown]
	v_add_f64 v[76:77], v[66:67], -v[74:75]
	v_fma_f64 v[44:45], v[68:69], s[18:19], v[44:45]
	v_add_f64 v[76:77], v[101:102], v[76:77]
	v_fma_f64 v[103:104], v[76:77], s[14:15], v[44:45]
	v_add_f64 v[44:45], v[66:67], v[78:79]
	v_add_f64 v[66:67], v[74:75], -v[66:67]
	v_fma_f64 v[101:102], v[76:77], s[14:15], v[72:73]
	s_waitcnt vmcnt(10)
	v_add_f64 v[72:73], v[52:53], -v[60:61]
	v_fma_f64 v[44:45], v[44:45], -0.5, v[46:47]
	v_add_f64 v[66:67], v[70:71], v[66:67]
	v_fma_f64 v[46:47], v[68:69], s[16:17], v[44:45]
	v_fma_f64 v[44:45], v[68:69], s[8:9], v[44:45]
	v_add_f64 v[68:69], v[56:57], -v[48:49]
	v_fma_f64 v[46:47], v[64:65], s[6:7], v[46:47]
	v_fma_f64 v[44:45], v[64:65], s[18:19], v[44:45]
	v_add_f64 v[68:69], v[72:73], v[68:69]
	v_fma_f64 v[105:106], v[66:67], s[14:15], v[46:47]
	v_fma_f64 v[107:108], v[66:67], s[14:15], v[44:45]
	v_add_f64 v[44:45], v[20:21], v[56:57]
	v_add_f64 v[46:47], v[58:59], -v[54:55]
	v_add_f64 v[66:67], v[50:51], -v[62:63]
	v_add_f64 v[44:45], v[48:49], v[44:45]
	v_add_f64 v[44:45], v[60:61], v[44:45]
	v_add_f64 v[70:71], v[52:53], v[44:45]
	v_add_f64 v[44:45], v[48:49], v[60:61]
	v_fma_f64 v[44:45], v[44:45], -0.5, v[20:21]
	v_fma_f64 v[64:65], v[46:47], s[16:17], v[44:45]
	v_fma_f64 v[44:45], v[46:47], s[8:9], v[44:45]
	;; [unrolled: 1-line block ×6, first 2 shown]
	v_add_f64 v[44:45], v[52:53], v[56:57]
	v_add_f64 v[64:65], v[48:49], -v[56:57]
	v_add_f64 v[68:69], v[60:61], -v[52:53]
	;; [unrolled: 1-line block ×5, first 2 shown]
	v_fma_f64 v[20:21], v[44:45], -0.5, v[20:21]
	v_add_f64 v[64:65], v[68:69], v[64:65]
	v_fma_f64 v[44:45], v[66:67], s[8:9], v[20:21]
	v_fma_f64 v[20:21], v[66:67], s[16:17], v[20:21]
	;; [unrolled: 1-line block ×6, first 2 shown]
	v_add_f64 v[20:21], v[22:23], v[58:59]
	v_add_f64 v[64:65], v[54:55], -v[62:63]
	v_add_f64 v[20:21], v[50:51], v[20:21]
	v_add_f64 v[60:61], v[64:65], v[60:61]
	;; [unrolled: 1-line block ×5, first 2 shown]
	v_add_f64 v[50:51], v[50:51], -v[58:59]
	v_fma_f64 v[20:21], v[20:21], -0.5, v[22:23]
	v_fma_f64 v[56:57], v[52:53], s[8:9], v[20:21]
	v_fma_f64 v[20:21], v[52:53], s[16:17], v[20:21]
	;; [unrolled: 1-line block ×6, first 2 shown]
	v_add_f64 v[20:21], v[54:55], v[58:59]
	v_add_f64 v[54:55], v[62:63], -v[54:55]
	v_fma_f64 v[20:21], v[20:21], -0.5, v[22:23]
	v_add_f64 v[50:51], v[54:55], v[50:51]
	v_fma_f64 v[22:23], v[48:49], s[16:17], v[20:21]
	v_fma_f64 v[20:21], v[48:49], s[8:9], v[20:21]
	v_add_f64 v[48:49], v[70:71], v[84:85]
	v_add_f64 v[70:71], v[84:85], -v[70:71]
	s_waitcnt vmcnt(7)
	v_add_f64 v[84:85], v[24:25], v[32:33]
	v_fma_f64 v[22:23], v[52:53], s[6:7], v[22:23]
	v_fma_f64 v[20:21], v[52:53], s[18:19], v[20:21]
	s_waitcnt vmcnt(5)
	v_add_f64 v[84:85], v[28:29], v[84:85]
	v_fma_f64 v[54:55], v[50:51], s[14:15], v[22:23]
	v_fma_f64 v[52:53], v[50:51], s[14:15], v[20:21]
	v_mul_f64 v[20:21], v[56:57], s[18:19]
	v_mul_f64 v[22:23], v[56:57], s[20:21]
	;; [unrolled: 1-line block ×3, first 2 shown]
	s_waitcnt vmcnt(3)
	v_add_f64 v[84:85], v[36:37], v[84:85]
	v_fma_f64 v[58:59], v[72:73], s[20:21], v[20:21]
	v_mul_f64 v[20:21], v[54:55], s[16:17]
	v_fma_f64 v[115:116], v[72:73], s[6:7], v[22:23]
	v_fma_f64 v[117:118], v[74:75], s[6:7], v[56:57]
	s_waitcnt vmcnt(1)
	v_add_f64 v[84:85], v[40:41], v[84:85]
	v_add_f64 v[50:51], v[86:87], v[58:59]
	v_fma_f64 v[62:63], v[44:45], s[14:15], v[20:21]
	v_mul_f64 v[20:21], v[52:53], s[16:17]
	v_add_f64 v[76:77], v[86:87], -v[58:59]
	v_add_f64 v[86:87], v[28:29], v[36:37]
	v_add_f64 v[22:23], v[101:102], v[115:116]
	v_add_f64 v[58:59], v[97:98], -v[109:110]
	v_mul_f64 v[44:45], v[44:45], s[8:9]
	v_add_f64 v[56:57], v[103:104], v[117:118]
	v_add_f64 v[64:65], v[99:100], v[62:63]
	v_fma_f64 v[111:112], v[46:47], s[22:23], v[20:21]
	v_mul_f64 v[20:21], v[60:61], s[18:19]
	v_fma_f64 v[86:87], v[86:87], -0.5, v[24:25]
	v_add_f64 v[78:79], v[99:100], -v[62:63]
	v_add_f64 v[60:61], v[101:102], -v[115:116]
	;; [unrolled: 1-line block ×4, first 2 shown]
	v_fma_f64 v[54:55], v[54:55], s[14:15], v[44:45]
	v_add_f64 v[66:67], v[90:91], v[111:112]
	v_fma_f64 v[113:114], v[74:75], s[24:25], v[20:21]
	v_add_f64 v[72:73], v[90:91], -v[111:112]
	v_add_f64 v[90:91], v[34:35], -v[42:43]
	v_add_f64 v[20:21], v[109:110], v[97:98]
	v_add_f64 v[97:98], v[30:31], -v[38:39]
	v_add_f64 v[99:100], v[101:102], v[99:100]
	v_add_f64 v[44:45], v[105:106], v[54:55]
	v_add_f64 v[62:63], v[105:106], -v[54:55]
	v_add_f64 v[68:69], v[88:89], v[113:114]
	v_add_f64 v[74:75], v[88:89], -v[113:114]
	v_fma_f64 v[88:89], v[90:91], s[16:17], v[86:87]
	v_fma_f64 v[86:87], v[90:91], s[8:9], v[86:87]
	v_add_f64 v[54:55], v[103:104], -v[117:118]
	v_add_f64 v[101:102], v[28:29], -v[32:33]
	;; [unrolled: 1-line block ×4, first 2 shown]
	v_mul_f64 v[52:53], v[52:53], s[22:23]
	v_fma_f64 v[88:89], v[97:98], s[18:19], v[88:89]
	v_fma_f64 v[86:87], v[97:98], s[6:7], v[86:87]
	v_add_f64 v[101:102], v[103:104], v[101:102]
	s_waitcnt vmcnt(0)
	v_add_f64 v[103:104], v[4:5], -v[16:17]
	v_fma_f64 v[52:53], v[46:47], s[8:9], v[52:53]
	v_fma_f64 v[88:89], v[99:100], s[14:15], v[88:89]
	;; [unrolled: 1-line block ×3, first 2 shown]
	v_add_f64 v[99:100], v[40:41], v[32:33]
	v_add_f64 v[32:33], v[32:33], -v[40:41]
	v_add_f64 v[46:47], v[107:108], v[52:53]
	v_add_f64 v[52:53], v[107:108], -v[52:53]
	v_fma_f64 v[24:25], v[99:100], -0.5, v[24:25]
	v_fma_f64 v[99:100], v[97:98], s[8:9], v[24:25]
	v_fma_f64 v[24:25], v[97:98], s[16:17], v[24:25]
	;; [unrolled: 1-line block ×6, first 2 shown]
	v_add_f64 v[24:25], v[26:27], v[34:35]
	v_add_f64 v[101:102], v[42:43], -v[38:39]
	v_add_f64 v[24:25], v[30:31], v[24:25]
	v_add_f64 v[24:25], v[38:39], v[24:25]
	;; [unrolled: 1-line block ×4, first 2 shown]
	v_fma_f64 v[24:25], v[24:25], -0.5, v[26:27]
	v_fma_f64 v[40:41], v[32:33], s[8:9], v[24:25]
	v_fma_f64 v[24:25], v[32:33], s[16:17], v[24:25]
	;; [unrolled: 1-line block ×3, first 2 shown]
	v_add_f64 v[40:41], v[34:35], -v[30:31]
	v_fma_f64 v[24:25], v[28:29], s[18:19], v[24:25]
	v_add_f64 v[30:31], v[30:31], -v[34:35]
	v_add_f64 v[40:41], v[101:102], v[40:41]
	v_fma_f64 v[101:102], v[40:41], s[14:15], v[24:25]
	v_add_f64 v[24:25], v[42:43], v[34:35]
	v_add_f64 v[34:35], v[38:39], -v[42:43]
	v_fma_f64 v[36:37], v[40:41], s[14:15], v[36:37]
	v_add_f64 v[42:43], v[16:17], -v[4:5]
	v_fma_f64 v[24:25], v[24:25], -0.5, v[26:27]
	v_add_f64 v[30:31], v[34:35], v[30:31]
	v_fma_f64 v[26:27], v[28:29], s[16:17], v[24:25]
	v_fma_f64 v[24:25], v[28:29], s[8:9], v[24:25]
	;; [unrolled: 1-line block ×4, first 2 shown]
	v_add_f64 v[32:33], v[0:1], -v[8:9]
	v_fma_f64 v[38:39], v[30:31], s[14:15], v[26:27]
	v_fma_f64 v[40:41], v[30:31], s[14:15], v[24:25]
	v_add_f64 v[24:25], v[0:1], v[12:13]
	v_add_f64 v[26:27], v[2:3], -v[18:19]
	v_add_f64 v[30:31], v[10:11], -v[6:7]
	v_add_f64 v[32:33], v[42:43], v[32:33]
	v_add_f64 v[42:43], v[8:9], -v[0:1]
	v_add_f64 v[24:25], v[8:9], v[24:25]
	v_add_f64 v[42:43], v[103:104], v[42:43]
	;; [unrolled: 1-line block ×5, first 2 shown]
	v_add_f64 v[4:5], v[8:9], -v[4:5]
	v_fma_f64 v[24:25], v[24:25], -0.5, v[12:13]
	v_fma_f64 v[28:29], v[26:27], s[16:17], v[24:25]
	v_fma_f64 v[24:25], v[26:27], s[8:9], v[24:25]
	;; [unrolled: 1-line block ×6, first 2 shown]
	v_add_f64 v[24:25], v[0:1], v[16:17]
	v_add_f64 v[0:1], v[0:1], -v[16:17]
	v_fma_f64 v[12:13], v[24:25], -0.5, v[12:13]
	v_fma_f64 v[24:25], v[30:31], s[8:9], v[12:13]
	v_fma_f64 v[12:13], v[30:31], s[16:17], v[12:13]
	;; [unrolled: 1-line block ×4, first 2 shown]
	v_add_f64 v[26:27], v[18:19], -v[6:7]
	v_fma_f64 v[103:104], v[42:43], s[14:15], v[24:25]
	v_add_f64 v[24:25], v[2:3], v[14:15]
	v_fma_f64 v[12:13], v[42:43], s[14:15], v[12:13]
	v_add_f64 v[24:25], v[10:11], v[24:25]
	v_add_f64 v[24:25], v[6:7], v[24:25]
	;; [unrolled: 1-line block ×4, first 2 shown]
	v_add_f64 v[6:7], v[6:7], -v[18:19]
	v_fma_f64 v[24:25], v[24:25], -0.5, v[14:15]
	v_fma_f64 v[16:17], v[0:1], s[8:9], v[24:25]
	v_fma_f64 v[8:9], v[4:5], s[6:7], v[16:17]
	v_add_f64 v[16:17], v[2:3], -v[10:11]
	v_add_f64 v[16:17], v[26:27], v[16:17]
	v_fma_f64 v[26:27], v[16:17], s[14:15], v[8:9]
	v_fma_f64 v[8:9], v[0:1], s[16:17], v[24:25]
	v_add_f64 v[24:25], v[97:98], v[42:43]
	v_fma_f64 v[8:9], v[4:5], s[18:19], v[8:9]
	v_fma_f64 v[16:17], v[16:17], s[14:15], v[8:9]
	v_add_f64 v[8:9], v[2:3], v[18:19]
	v_add_f64 v[2:3], v[10:11], -v[2:3]
	v_fma_f64 v[8:9], v[8:9], -0.5, v[14:15]
	v_add_f64 v[2:3], v[6:7], v[2:3]
	v_fma_f64 v[14:15], v[4:5], s[16:17], v[8:9]
	v_fma_f64 v[4:5], v[4:5], s[8:9], v[8:9]
	v_mul_f64 v[8:9], v[16:17], s[18:19]
	v_fma_f64 v[14:15], v[0:1], s[6:7], v[14:15]
	v_fma_f64 v[0:1], v[0:1], s[18:19], v[4:5]
	;; [unrolled: 1-line block ×5, first 2 shown]
	v_mul_f64 v[2:3], v[26:27], s[18:19]
	v_add_f64 v[0:1], v[84:85], v[34:35]
	v_add_f64 v[8:9], v[86:87], v[109:110]
	v_mul_f64 v[4:5], v[10:11], s[16:17]
	v_mul_f64 v[6:7], v[14:15], s[16:17]
	v_fma_f64 v[18:19], v[28:29], s[20:21], v[2:3]
	v_mul_f64 v[28:29], v[28:29], s[6:7]
	v_fma_f64 v[105:106], v[103:104], s[14:15], v[4:5]
	v_fma_f64 v[107:108], v[12:13], s[22:23], v[6:7]
	v_add_f64 v[2:3], v[88:89], v[18:19]
	v_fma_f64 v[111:112], v[26:27], s[20:21], v[28:29]
	v_mul_f64 v[28:29], v[103:104], s[8:9]
	v_add_f64 v[4:5], v[99:100], v[105:106]
	v_add_f64 v[6:7], v[90:91], v[107:108]
	;; [unrolled: 1-line block ×3, first 2 shown]
	v_fma_f64 v[103:104], v[10:11], s[14:15], v[28:29]
	v_mul_f64 v[10:11], v[14:15], s[22:23]
	v_add_f64 v[14:15], v[99:100], -v[105:106]
	v_add_f64 v[36:37], v[36:37], -v[111:112]
	v_add_f64 v[28:29], v[38:39], v[103:104]
	v_fma_f64 v[113:114], v[12:13], s[8:9], v[10:11]
	v_mul_f64 v[10:11], v[16:17], s[24:25]
	v_add_f64 v[12:13], v[88:89], -v[18:19]
	v_add_f64 v[16:17], v[90:91], -v[107:108]
	v_add_f64 v[18:19], v[86:87], -v[109:110]
	v_add_f64 v[38:39], v[38:39], -v[103:104]
	v_lshl_add_u32 v103, v95, 3, 0
	v_add_f64 v[30:31], v[40:41], v[113:114]
	v_fma_f64 v[115:116], v[32:33], s[6:7], v[10:11]
	v_add_f64 v[10:11], v[84:85], -v[34:35]
	v_mul_u32_u24_e32 v84, 10, v92
	v_lshl_add_u32 v86, v84, 3, 0
	ds_write_b128 v86, v[48:51]
	ds_write_b128 v86, v[64:67] offset:16
	ds_write_b128 v86, v[68:71] offset:32
	;; [unrolled: 1-line block ×4, first 2 shown]
	v_mul_i32_i24_e32 v48, 10, v93
	v_add_f64 v[34:35], v[97:98], -v[42:43]
	v_lshl_add_u32 v97, v48, 3, 0
	v_add_f64 v[32:33], v[101:102], v[115:116]
	v_add_f64 v[42:43], v[101:102], -v[115:116]
	v_mad_i32_i24 v101, v92, s0, v86
	v_lshl_add_u32 v102, v94, 3, 0
	v_add_u32_e32 v98, 0x1e00, v101
	v_add_u32_e32 v104, 0x2b00, v101
	;; [unrolled: 1-line block ×7, first 2 shown]
	v_mad_i32_i24 v108, v93, s0, v97
	s_movk_i32 s0, 0xcd
	v_add_f64 v[40:41], v[40:41], -v[113:114]
	ds_write_b128 v97, v[0:3]
	ds_write_b128 v97, v[4:7] offset:16
	ds_write_b128 v97, v[8:11] offset:32
	;; [unrolled: 1-line block ×4, first 2 shown]
	s_waitcnt lgkmcnt(0)
	s_barrier
	ds_read_b64 v[64:65], v101
	ds_read_b64 v[66:67], v102
	;; [unrolled: 1-line block ×3, first 2 shown]
	ds_read2_b64 v[111:114], v98 offset0:40 offset1:240
	ds_read2_b64 v[115:118], v104 offset0:24 offset1:224
	;; [unrolled: 1-line block ×7, first 2 shown]
	ds_read_b64 v[18:19], v108
	ds_read_b64 v[88:89], v101 offset:4800
	ds_read_b64 v[84:85], v101 offset:30400
	s_waitcnt lgkmcnt(0)
	s_barrier
	ds_write_b128 v86, v[20:23]
	ds_write_b128 v86, v[44:47] offset:16
	ds_write_b128 v86, v[56:59] offset:32
	;; [unrolled: 1-line block ×4, first 2 shown]
	ds_write_b128 v97, v[24:27]
	ds_write_b128 v97, v[28:31] offset:16
	ds_write_b128 v97, v[32:35] offset:32
	;; [unrolled: 1-line block ×4, first 2 shown]
	v_mul_lo_u16_sdwa v28, v92, s0 dst_sel:DWORD dst_unused:UNUSED_PAD src0_sel:BYTE_0 src1_sel:DWORD
	v_lshrrev_b16_e32 v90, 11, v28
	v_mul_lo_u16_e32 v28, 10, v90
	v_sub_u16_e32 v91, v92, v28
	v_mov_b32_e32 v28, 9
	v_mul_u32_u24_sdwa v28, v91, v28 dst_sel:DWORD dst_unused:UNUSED_PAD src0_sel:BYTE_0 src1_sel:DWORD
	v_lshlrev_b32_e32 v109, 4, v28
	s_waitcnt lgkmcnt(0)
	s_barrier
	ds_read_b64 v[60:61], v101
	ds_read_b64 v[40:41], v102
	;; [unrolled: 1-line block ×3, first 2 shown]
	ds_read2_b64 v[20:23], v98 offset0:40 offset1:240
	ds_read2_b64 v[24:27], v104 offset0:24 offset1:224
	;; [unrolled: 1-line block ×7, first 2 shown]
	ds_read_b64 v[16:17], v108
	ds_read_b64 v[141:142], v101 offset:4800
	ds_read_b64 v[86:87], v101 offset:30400
	global_load_dwordx4 v[28:31], v109, s[12:13] offset:48
	global_load_dwordx4 v[36:39], v109, s[12:13] offset:32
	;; [unrolled: 1-line block ×3, first 2 shown]
	global_load_dwordx4 v[32:35], v109, s[12:13]
	s_mov_b32 s0, 0xcccd
	s_waitcnt vmcnt(0) lgkmcnt(11)
	v_mul_f64 v[50:51], v[40:41], v[34:35]
	v_mul_f64 v[34:35], v[66:67], v[34:35]
	v_fma_f64 v[50:51], v[66:67], v[32:33], v[50:51]
	v_fma_f64 v[34:35], v[40:41], v[32:33], -v[34:35]
	s_waitcnt lgkmcnt(10)
	v_mul_f64 v[32:33], v[62:63], v[48:49]
	v_fma_f64 v[74:75], v[68:69], v[46:47], v[32:33]
	v_mul_f64 v[32:33], v[68:69], v[48:49]
	v_fma_f64 v[62:63], v[62:63], v[46:47], -v[32:33]
	s_waitcnt lgkmcnt(9)
	v_mul_f64 v[32:33], v[22:23], v[38:39]
	v_fma_f64 v[46:47], v[113:114], v[36:37], v[32:33]
	v_mul_f64 v[32:33], v[113:114], v[38:39]
	;; [unrolled: 5-line block ×3, first 2 shown]
	v_fma_f64 v[66:67], v[26:27], v[28:29], -v[22:23]
	global_load_dwordx4 v[26:29], v109, s[12:13] offset:112
	global_load_dwordx4 v[38:41], v109, s[12:13] offset:96
	;; [unrolled: 1-line block ×4, first 2 shown]
	s_waitcnt vmcnt(0) lgkmcnt(7)
	v_mul_f64 v[22:23], v[44:45], v[78:79]
	v_fma_f64 v[48:49], v[121:122], v[76:77], v[22:23]
	v_mul_f64 v[22:23], v[121:122], v[78:79]
	v_fma_f64 v[36:37], v[44:45], v[76:77], -v[22:23]
	s_waitcnt lgkmcnt(6)
	v_mul_f64 v[22:23], v[54:55], v[70:71]
	v_fma_f64 v[76:77], v[14:15], v[68:69], v[22:23]
	v_mul_f64 v[14:15], v[14:15], v[70:71]
	v_fma_f64 v[68:69], v[54:55], v[68:69], -v[14:15]
	s_waitcnt lgkmcnt(5)
	;; [unrolled: 5-line block ×3, first 2 shown]
	v_mul_f64 v[10:11], v[125:126], v[28:29]
	v_fma_f64 v[78:79], v[6:7], v[26:27], v[10:11]
	v_mul_f64 v[6:7], v[6:7], v[28:29]
	v_fma_f64 v[70:71], v[125:126], v[26:27], -v[6:7]
	global_load_dwordx4 v[26:29], v109, s[12:13] offset:128
	s_waitcnt vmcnt(0) lgkmcnt(3)
	v_mul_f64 v[6:7], v[129:130], v[28:29]
	v_fma_f64 v[58:59], v[2:3], v[26:27], v[6:7]
	v_mul_f64 v[2:3], v[2:3], v[28:29]
	v_fma_f64 v[40:41], v[129:130], v[26:27], -v[2:3]
	v_mul_u32_u24_sdwa v2, v93, s0 dst_sel:DWORD dst_unused:UNUSED_PAD src0_sel:WORD_0 src1_sel:DWORD
	v_lshrrev_b32_e32 v109, 19, v2
	v_mul_lo_u16_e32 v2, 10, v109
	v_sub_u16_e32 v110, v93, v2
	v_mul_u32_u24_e32 v2, 9, v110
	v_lshlrev_b32_e32 v125, 4, v2
	global_load_dwordx4 v[129:132], v125, s[12:13] offset:48
	global_load_dwordx4 v[28:31], v125, s[12:13] offset:32
	global_load_dwordx4 v[133:136], v125, s[12:13] offset:16
	global_load_dwordx4 v[137:140], v125, s[12:13]
	s_movk_i32 s0, 0x64
	v_cmp_gt_u32_e64 s[0:1], s0, v92
	s_waitcnt vmcnt(3)
	v_mul_f64 v[22:23], v[42:43], v[131:132]
	s_waitcnt vmcnt(0) lgkmcnt(1)
	v_mul_f64 v[2:3], v[141:142], v[139:140]
	v_fma_f64 v[14:15], v[88:89], v[137:138], v[2:3]
	v_mul_f64 v[2:3], v[88:89], v[139:140]
	v_fma_f64 v[6:7], v[141:142], v[137:138], -v[2:3]
	v_mul_f64 v[2:3], v[20:21], v[135:136]
	v_fma_f64 v[26:27], v[111:112], v[133:134], v[2:3]
	v_mul_f64 v[2:3], v[111:112], v[135:136]
	v_fma_f64 v[20:21], v[20:21], v[133:134], -v[2:3]
	;; [unrolled: 4-line block ×3, first 2 shown]
	v_fma_f64 v[28:29], v[119:120], v[129:130], v[22:23]
	v_mul_f64 v[22:23], v[119:120], v[131:132]
	v_fma_f64 v[22:23], v[42:43], v[129:130], -v[22:23]
	global_load_dwordx4 v[111:114], v125, s[12:13] offset:112
	global_load_dwordx4 v[115:118], v125, s[12:13] offset:96
	;; [unrolled: 1-line block ×4, first 2 shown]
	s_waitcnt vmcnt(1)
	v_mul_f64 v[30:31], v[56:57], v[44:45]
	s_waitcnt vmcnt(0)
	v_mul_f64 v[24:25], v[52:53], v[121:122]
	v_fma_f64 v[24:25], v[12:13], v[119:120], v[24:25]
	v_mul_f64 v[12:13], v[12:13], v[121:122]
	v_fma_f64 v[12:13], v[52:53], v[119:120], -v[12:13]
	v_fma_f64 v[52:53], v[8:9], v[42:43], v[30:31]
	v_mul_f64 v[8:9], v[8:9], v[44:45]
	v_mul_f64 v[30:31], v[127:128], v[113:114]
	v_add_f64 v[119:120], v[76:77], -v[78:79]
	v_fma_f64 v[42:43], v[56:57], v[42:43], -v[8:9]
	v_fma_f64 v[56:57], v[0:1], v[111:112], v[30:31]
	v_mul_f64 v[0:1], v[0:1], v[113:114]
	v_mul_f64 v[8:9], v[123:124], v[117:118]
	v_fma_f64 v[44:45], v[127:128], v[111:112], -v[0:1]
	global_load_dwordx4 v[111:114], v125, s[12:13] offset:128
	v_fma_f64 v[8:9], v[4:5], v[115:116], v[8:9]
	v_mul_f64 v[4:5], v[4:5], v[117:118]
	v_add_f64 v[117:118], v[78:79], -v[76:77]
	s_waitcnt vmcnt(0) lgkmcnt(0)
	s_barrier
	v_fma_f64 v[4:5], v[123:124], v[115:116], -v[4:5]
	v_add_f64 v[115:116], v[74:75], -v[72:73]
	v_add_f64 v[115:116], v[115:116], v[117:118]
	v_add_f64 v[117:118], v[72:73], -v[74:75]
	v_add_f64 v[117:118], v[117:118], v[119:120]
	v_add_f64 v[119:120], v[54:55], -v[58:59]
	v_mul_f64 v[0:1], v[86:87], v[113:114]
	v_fma_f64 v[30:31], v[84:85], v[111:112], v[0:1]
	v_mul_f64 v[0:1], v[84:85], v[113:114]
	v_add_f64 v[113:114], v[66:67], -v[68:69]
	v_add_f64 v[84:85], v[64:65], v[74:75]
	v_fma_f64 v[0:1], v[86:87], v[111:112], -v[0:1]
	v_add_f64 v[86:87], v[72:73], v[76:77]
	v_add_f64 v[111:112], v[62:63], -v[70:71]
	v_add_f64 v[84:85], v[84:85], v[72:73]
	v_add_f64 v[72:73], v[72:73], -v[76:77]
	v_fma_f64 v[88:89], v[86:87], -0.5, v[64:65]
	v_add_f64 v[84:85], v[84:85], v[76:77]
	v_fma_f64 v[86:87], v[111:112], s[16:17], v[88:89]
	v_fma_f64 v[88:89], v[111:112], s[8:9], v[88:89]
	v_add_f64 v[84:85], v[84:85], v[78:79]
	v_fma_f64 v[86:87], v[113:114], s[18:19], v[86:87]
	v_fma_f64 v[88:89], v[113:114], s[6:7], v[88:89]
	v_fma_f64 v[86:87], v[115:116], s[14:15], v[86:87]
	v_fma_f64 v[88:89], v[115:116], s[14:15], v[88:89]
	v_add_f64 v[115:116], v[74:75], v[78:79]
	v_add_f64 v[74:75], v[74:75], -v[78:79]
	v_fma_f64 v[64:65], v[115:116], -0.5, v[64:65]
	v_fma_f64 v[115:116], v[113:114], s[8:9], v[64:65]
	v_fma_f64 v[64:65], v[113:114], s[16:17], v[64:65]
	v_add_f64 v[113:114], v[66:67], v[68:69]
	v_fma_f64 v[115:116], v[111:112], s[18:19], v[115:116]
	v_fma_f64 v[64:65], v[111:112], s[6:7], v[64:65]
	v_fma_f64 v[113:114], v[113:114], -0.5, v[60:61]
	v_add_f64 v[111:112], v[60:61], v[62:63]
	v_fma_f64 v[115:116], v[117:118], s[14:15], v[115:116]
	v_fma_f64 v[64:65], v[117:118], s[14:15], v[64:65]
	;; [unrolled: 1-line block ×3, first 2 shown]
	v_add_f64 v[117:118], v[70:71], -v[68:69]
	v_add_f64 v[111:112], v[111:112], v[66:67]
	v_fma_f64 v[76:77], v[72:73], s[6:7], v[78:79]
	v_add_f64 v[78:79], v[62:63], -v[66:67]
	v_add_f64 v[111:112], v[111:112], v[68:69]
	v_add_f64 v[78:79], v[78:79], v[117:118]
	;; [unrolled: 1-line block ×3, first 2 shown]
	v_fma_f64 v[117:118], v[78:79], s[14:15], v[76:77]
	v_fma_f64 v[76:77], v[74:75], s[16:17], v[113:114]
	;; [unrolled: 1-line block ×4, first 2 shown]
	v_add_f64 v[76:77], v[62:63], v[70:71]
	v_add_f64 v[62:63], v[66:67], -v[62:63]
	v_add_f64 v[66:67], v[68:69], -v[70:71]
	;; [unrolled: 1-line block ×3, first 2 shown]
	v_fma_f64 v[60:61], v[76:77], -0.5, v[60:61]
	v_add_f64 v[62:63], v[62:63], v[66:67]
	v_add_f64 v[66:67], v[32:33], -v[40:41]
	v_fma_f64 v[76:77], v[72:73], s[16:17], v[60:61]
	v_fma_f64 v[60:61], v[72:73], s[8:9], v[60:61]
	;; [unrolled: 1-line block ×4, first 2 shown]
	v_add_f64 v[74:75], v[36:37], -v[38:39]
	v_fma_f64 v[68:69], v[62:63], s[14:15], v[76:77]
	v_fma_f64 v[70:71], v[62:63], s[14:15], v[60:61]
	v_add_f64 v[62:63], v[48:49], v[54:55]
	v_add_f64 v[76:77], v[46:47], -v[48:49]
	v_add_f64 v[60:61], v[50:51], v[46:47]
	v_fma_f64 v[62:63], v[62:63], -0.5, v[50:51]
	v_add_f64 v[76:77], v[76:77], v[78:79]
	v_add_f64 v[78:79], v[48:49], -v[46:47]
	v_add_f64 v[60:61], v[60:61], v[48:49]
	v_add_f64 v[48:49], v[48:49], -v[54:55]
	v_fma_f64 v[72:73], v[66:67], s[16:17], v[62:63]
	v_fma_f64 v[62:63], v[66:67], s[8:9], v[62:63]
	v_add_f64 v[78:79], v[78:79], v[119:120]
	v_add_f64 v[60:61], v[60:61], v[54:55]
	v_fma_f64 v[72:73], v[74:75], s[18:19], v[72:73]
	v_fma_f64 v[62:63], v[74:75], s[6:7], v[62:63]
	v_add_f64 v[60:61], v[60:61], v[58:59]
	v_fma_f64 v[72:73], v[76:77], s[14:15], v[72:73]
	v_fma_f64 v[62:63], v[76:77], s[14:15], v[62:63]
	v_add_f64 v[76:77], v[46:47], v[58:59]
	v_add_f64 v[46:47], v[46:47], -v[58:59]
	v_fma_f64 v[50:51], v[76:77], -0.5, v[50:51]
	v_fma_f64 v[76:77], v[74:75], s[8:9], v[50:51]
	v_fma_f64 v[50:51], v[74:75], s[16:17], v[50:51]
	v_add_f64 v[74:75], v[40:41], -v[38:39]
	v_fma_f64 v[76:77], v[66:67], s[18:19], v[76:77]
	v_fma_f64 v[50:51], v[66:67], s[6:7], v[50:51]
	v_add_f64 v[66:67], v[34:35], v[32:33]
	v_fma_f64 v[76:77], v[78:79], s[14:15], v[76:77]
	v_fma_f64 v[50:51], v[78:79], s[14:15], v[50:51]
	v_add_f64 v[66:67], v[66:67], v[36:37]
	v_add_f64 v[66:67], v[66:67], v[38:39]
	;; [unrolled: 1-line block ×4, first 2 shown]
	v_fma_f64 v[66:67], v[66:67], -0.5, v[34:35]
	v_fma_f64 v[58:59], v[46:47], s[8:9], v[66:67]
	v_fma_f64 v[54:55], v[48:49], s[6:7], v[58:59]
	v_add_f64 v[58:59], v[32:33], -v[36:37]
	v_add_f64 v[58:59], v[58:59], v[74:75]
	v_fma_f64 v[74:75], v[58:59], s[14:15], v[54:55]
	v_fma_f64 v[54:55], v[46:47], s[16:17], v[66:67]
	;; [unrolled: 1-line block ×4, first 2 shown]
	v_add_f64 v[54:55], v[32:33], v[40:41]
	v_add_f64 v[32:33], v[36:37], -v[32:33]
	v_add_f64 v[36:37], v[38:39], -v[40:41]
	v_mul_f64 v[38:39], v[74:75], s[20:21]
	v_fma_f64 v[34:35], v[54:55], -0.5, v[34:35]
	v_add_f64 v[32:33], v[32:33], v[36:37]
	v_fma_f64 v[129:130], v[72:73], s[6:7], v[38:39]
	v_fma_f64 v[54:55], v[48:49], s[16:17], v[34:35]
	;; [unrolled: 1-line block ×3, first 2 shown]
	v_add_f64 v[38:39], v[117:118], v[129:130]
	v_fma_f64 v[54:55], v[46:47], s[6:7], v[54:55]
	v_fma_f64 v[34:35], v[46:47], s[18:19], v[34:35]
	;; [unrolled: 1-line block ×4, first 2 shown]
	v_mul_f64 v[32:33], v[74:75], s[18:19]
	v_add_f64 v[34:35], v[84:85], v[60:61]
	v_mul_f64 v[46:47], v[66:67], s[14:15]
	v_fma_f64 v[121:122], v[72:73], s[20:21], v[32:33]
	v_mul_f64 v[32:33], v[66:67], s[16:17]
	v_mul_f64 v[66:67], v[78:79], s[22:23]
	v_fma_f64 v[131:132], v[76:77], s[8:9], v[46:47]
	v_add_f64 v[36:37], v[86:87], v[121:122]
	v_fma_f64 v[123:124], v[76:77], s[14:15], v[32:33]
	v_mul_f64 v[32:33], v[78:79], s[16:17]
	v_add_f64 v[72:73], v[86:87], -v[121:122]
	v_add_f64 v[86:87], v[28:29], v[52:53]
	v_fma_f64 v[133:134], v[50:51], s[8:9], v[66:67]
	v_add_f64 v[66:67], v[84:85], -v[60:61]
	v_add_f64 v[60:61], v[111:112], -v[119:120]
	v_add_f64 v[46:47], v[68:69], v[131:132]
	v_add_f64 v[40:41], v[115:116], v[123:124]
	v_fma_f64 v[125:126], v[50:51], s[22:23], v[32:33]
	v_mul_f64 v[32:33], v[58:59], s[18:19]
	v_mul_f64 v[58:59], v[58:59], s[24:25]
	v_add_f64 v[50:51], v[70:71], v[133:134]
	v_add_f64 v[74:75], v[115:116], -v[123:124]
	v_add_f64 v[115:116], v[26:27], -v[28:29]
	v_add_f64 v[84:85], v[18:19], v[26:27]
	v_add_f64 v[48:49], v[64:65], v[125:126]
	v_fma_f64 v[127:128], v[62:63], s[24:25], v[32:33]
	v_add_f64 v[32:33], v[111:112], v[119:120]
	v_fma_f64 v[135:136], v[62:63], s[6:7], v[58:59]
	v_add_f64 v[111:112], v[20:21], -v[44:45]
	v_add_f64 v[76:77], v[64:65], -v[125:126]
	;; [unrolled: 1-line block ×5, first 2 shown]
	v_add_f64 v[54:55], v[88:89], v[127:128]
	v_add_f64 v[78:79], v[88:89], -v[127:128]
	v_fma_f64 v[88:89], v[86:87], -0.5, v[18:19]
	v_add_f64 v[58:59], v[113:114], v[135:136]
	v_add_f64 v[70:71], v[113:114], -v[135:136]
	v_add_f64 v[113:114], v[22:23], -v[42:43]
	v_add_f64 v[117:118], v[56:57], -v[52:53]
	v_add_f64 v[84:85], v[84:85], v[28:29]
	v_add_f64 v[119:120], v[52:53], -v[56:57]
	v_fma_f64 v[86:87], v[111:112], s[16:17], v[88:89]
	v_fma_f64 v[88:89], v[111:112], s[8:9], v[88:89]
	v_add_f64 v[115:116], v[115:116], v[117:118]
	v_add_f64 v[84:85], v[84:85], v[52:53]
	v_add_f64 v[117:118], v[28:29], -v[26:27]
	v_add_f64 v[28:29], v[28:29], -v[52:53]
	v_fma_f64 v[86:87], v[113:114], s[18:19], v[86:87]
	v_fma_f64 v[88:89], v[113:114], s[6:7], v[88:89]
	v_add_f64 v[84:85], v[84:85], v[56:57]
	v_add_f64 v[117:118], v[117:118], v[119:120]
	v_add_f64 v[119:120], v[8:9], -v[30:31]
	v_fma_f64 v[86:87], v[115:116], s[14:15], v[86:87]
	v_fma_f64 v[88:89], v[115:116], s[14:15], v[88:89]
	v_add_f64 v[115:116], v[26:27], v[56:57]
	v_add_f64 v[26:27], v[26:27], -v[56:57]
	v_fma_f64 v[18:19], v[115:116], -0.5, v[18:19]
	v_fma_f64 v[115:116], v[113:114], s[8:9], v[18:19]
	v_fma_f64 v[18:19], v[113:114], s[16:17], v[18:19]
	v_add_f64 v[113:114], v[22:23], v[42:43]
	v_fma_f64 v[115:116], v[111:112], s[18:19], v[115:116]
	v_fma_f64 v[18:19], v[111:112], s[6:7], v[18:19]
	v_fma_f64 v[113:114], v[113:114], -0.5, v[16:17]
	v_add_f64 v[111:112], v[16:17], v[20:21]
	v_fma_f64 v[115:116], v[117:118], s[14:15], v[115:116]
	v_fma_f64 v[18:19], v[117:118], s[14:15], v[18:19]
	;; [unrolled: 1-line block ×3, first 2 shown]
	v_add_f64 v[117:118], v[44:45], -v[42:43]
	v_fma_f64 v[113:114], v[26:27], s[16:17], v[113:114]
	v_add_f64 v[111:112], v[111:112], v[22:23]
	v_fma_f64 v[52:53], v[28:29], s[6:7], v[56:57]
	v_add_f64 v[56:57], v[20:21], -v[22:23]
	v_fma_f64 v[113:114], v[28:29], s[18:19], v[113:114]
	v_add_f64 v[111:112], v[111:112], v[42:43]
	v_add_f64 v[56:57], v[56:57], v[117:118]
	v_add_f64 v[117:118], v[30:31], -v[8:9]
	v_add_f64 v[111:112], v[111:112], v[44:45]
	v_fma_f64 v[52:53], v[56:57], s[14:15], v[52:53]
	v_fma_f64 v[56:57], v[56:57], s[14:15], v[113:114]
	v_add_f64 v[113:114], v[20:21], v[44:45]
	v_add_f64 v[20:21], v[22:23], -v[20:21]
	v_add_f64 v[22:23], v[42:43], -v[44:45]
	;; [unrolled: 1-line block ×3, first 2 shown]
	v_fma_f64 v[16:17], v[113:114], -0.5, v[16:17]
	v_add_f64 v[20:21], v[20:21], v[22:23]
	v_fma_f64 v[113:114], v[28:29], s[16:17], v[16:17]
	v_fma_f64 v[16:17], v[28:29], s[8:9], v[16:17]
	v_add_f64 v[28:29], v[2:3], -v[0:1]
	v_fma_f64 v[113:114], v[26:27], s[6:7], v[113:114]
	v_fma_f64 v[16:17], v[26:27], s[18:19], v[16:17]
	v_add_f64 v[26:27], v[24:25], v[8:9]
	v_fma_f64 v[22:23], v[20:21], s[14:15], v[113:114]
	v_add_f64 v[113:114], v[10:11], -v[24:25]
	v_fma_f64 v[26:27], v[26:27], -0.5, v[14:15]
	v_fma_f64 v[16:17], v[20:21], s[14:15], v[16:17]
	v_add_f64 v[20:21], v[14:15], v[10:11]
	v_add_f64 v[113:114], v[113:114], v[117:118]
	v_fma_f64 v[42:43], v[28:29], s[16:17], v[26:27]
	v_fma_f64 v[26:27], v[28:29], s[8:9], v[26:27]
	v_add_f64 v[20:21], v[20:21], v[24:25]
	v_add_f64 v[117:118], v[24:25], -v[10:11]
	v_fma_f64 v[42:43], v[44:45], s[18:19], v[42:43]
	v_fma_f64 v[26:27], v[44:45], s[6:7], v[26:27]
	v_add_f64 v[20:21], v[20:21], v[8:9]
	v_add_f64 v[117:118], v[117:118], v[119:120]
	v_add_f64 v[8:9], v[24:25], -v[8:9]
	v_fma_f64 v[42:43], v[113:114], s[14:15], v[42:43]
	v_fma_f64 v[26:27], v[113:114], s[14:15], v[26:27]
	v_add_f64 v[113:114], v[10:11], v[30:31]
	v_add_f64 v[10:11], v[10:11], -v[30:31]
	v_add_f64 v[20:21], v[20:21], v[30:31]
	v_fma_f64 v[14:15], v[113:114], -0.5, v[14:15]
	v_fma_f64 v[113:114], v[44:45], s[8:9], v[14:15]
	v_fma_f64 v[14:15], v[44:45], s[16:17], v[14:15]
	v_add_f64 v[44:45], v[12:13], v[4:5]
	v_fma_f64 v[113:114], v[28:29], s[18:19], v[113:114]
	v_fma_f64 v[14:15], v[28:29], s[6:7], v[14:15]
	v_fma_f64 v[44:45], v[44:45], -0.5, v[6:7]
	v_add_f64 v[28:29], v[6:7], v[2:3]
	v_fma_f64 v[113:114], v[117:118], s[14:15], v[113:114]
	v_fma_f64 v[14:15], v[117:118], s[14:15], v[14:15]
	v_fma_f64 v[30:31], v[10:11], s[8:9], v[44:45]
	v_add_f64 v[117:118], v[0:1], -v[4:5]
	v_fma_f64 v[44:45], v[10:11], s[16:17], v[44:45]
	v_add_f64 v[28:29], v[28:29], v[12:13]
	v_fma_f64 v[24:25], v[8:9], s[6:7], v[30:31]
	v_add_f64 v[30:31], v[2:3], -v[12:13]
	v_fma_f64 v[44:45], v[8:9], s[18:19], v[44:45]
	v_add_f64 v[28:29], v[28:29], v[4:5]
	v_add_f64 v[30:31], v[30:31], v[117:118]
	;; [unrolled: 1-line block ×3, first 2 shown]
	v_fma_f64 v[24:25], v[30:31], s[14:15], v[24:25]
	v_fma_f64 v[30:31], v[30:31], s[14:15], v[44:45]
	v_add_f64 v[44:45], v[2:3], v[0:1]
	v_add_f64 v[2:3], v[12:13], -v[2:3]
	v_add_f64 v[0:1], v[4:5], -v[0:1]
	v_add_f64 v[123:124], v[111:112], v[28:29]
	v_add_f64 v[28:29], v[111:112], -v[28:29]
	v_mul_f64 v[119:120], v[30:31], s[18:19]
	v_fma_f64 v[6:7], v[44:45], -0.5, v[6:7]
	v_add_f64 v[0:1], v[2:3], v[0:1]
	v_fma_f64 v[119:120], v[26:27], s[24:25], v[119:120]
	v_fma_f64 v[44:45], v[8:9], s[16:17], v[6:7]
	;; [unrolled: 1-line block ×3, first 2 shown]
	v_mul_f64 v[6:7], v[24:25], s[18:19]
	v_mul_f64 v[24:25], v[24:25], s[20:21]
	v_add_f64 v[121:122], v[88:89], v[119:120]
	v_fma_f64 v[44:45], v[10:11], s[6:7], v[44:45]
	v_fma_f64 v[4:5], v[10:11], s[18:19], v[4:5]
	;; [unrolled: 1-line block ×6, first 2 shown]
	v_add_f64 v[4:5], v[84:85], v[20:21]
	v_add_f64 v[8:9], v[86:87], v[6:7]
	v_add_f64 v[20:21], v[84:85], -v[20:21]
	v_add_f64 v[6:7], v[86:87], -v[6:7]
	v_add_f64 v[42:43], v[52:53], v[24:25]
	v_add_f64 v[24:25], v[52:53], -v[24:25]
	v_mul_f64 v[10:11], v[2:3], s[16:17]
	v_mul_f64 v[44:45], v[0:1], s[16:17]
	;; [unrolled: 1-line block ×4, first 2 shown]
	v_fma_f64 v[10:11], v[113:114], s[14:15], v[10:11]
	v_fma_f64 v[44:45], v[14:15], s[22:23], v[44:45]
	;; [unrolled: 1-line block ×3, first 2 shown]
	v_mul_f64 v[14:15], v[30:31], s[24:25]
	v_fma_f64 v[2:3], v[113:114], s[8:9], v[2:3]
	v_add_f64 v[30:31], v[88:89], -v[119:120]
	v_add_f64 v[12:13], v[115:116], v[10:11]
	v_add_f64 v[117:118], v[18:19], v[44:45]
	v_add_f64 v[10:11], v[115:116], -v[10:11]
	v_fma_f64 v[14:15], v[26:27], s[6:7], v[14:15]
	v_add_f64 v[127:128], v[16:17], v[0:1]
	v_add_f64 v[18:19], v[18:19], -v[44:45]
	v_add_f64 v[16:17], v[16:17], -v[0:1]
	v_mov_b32_e32 v1, 3
	v_mul_u32_u24_e32 v0, 0x320, v90
	v_lshlrev_b32_sdwa v1, v1, v91 dst_sel:DWORD dst_unused:UNUSED_PAD src0_sel:DWORD src1_sel:BYTE_0
	v_add_f64 v[125:126], v[22:23], v[2:3]
	v_add3_u32 v52, 0, v0, v1
	v_mul_u32_u24_e32 v0, 0x320, v109
	v_lshlrev_b32_e32 v1, 3, v110
	v_add_f64 v[26:27], v[56:57], v[14:15]
	ds_write2_b64 v52, v[34:35], v[36:37] offset1:10
	ds_write2_b64 v52, v[40:41], v[48:49] offset0:20 offset1:30
	ds_write2_b64 v52, v[54:55], v[66:67] offset0:40 offset1:50
	ds_write2_b64 v52, v[72:73], v[74:75] offset0:60 offset1:70
	ds_write2_b64 v52, v[76:77], v[78:79] offset0:80 offset1:90
	v_add3_u32 v34, 0, v0, v1
	v_add_f64 v[22:23], v[22:23], -v[2:3]
	v_add_f64 v[44:45], v[56:57], -v[14:15]
	ds_write2_b64 v34, v[4:5], v[8:9] offset1:10
	ds_write2_b64 v34, v[12:13], v[117:118] offset0:20 offset1:30
	ds_write2_b64 v34, v[121:122], v[20:21] offset0:40 offset1:50
	;; [unrolled: 1-line block ×4, first 2 shown]
	s_waitcnt lgkmcnt(0)
	s_barrier
	ds_read_b64 v[66:67], v101
	ds_read_b64 v[40:41], v102
	;; [unrolled: 1-line block ×3, first 2 shown]
	ds_read2_b64 v[111:114], v98 offset0:40 offset1:240
	ds_read2_b64 v[115:118], v104 offset0:24 offset1:224
	;; [unrolled: 1-line block ×7, first 2 shown]
	ds_read_b64 v[30:31], v108
	ds_read_b64 v[90:91], v101 offset:4800
	ds_read_b64 v[86:87], v101 offset:30400
	s_waitcnt lgkmcnt(0)
	s_barrier
	ds_write2_b64 v52, v[32:33], v[38:39] offset1:10
	ds_write2_b64 v52, v[46:47], v[50:51] offset0:20 offset1:30
	ds_write2_b64 v52, v[58:59], v[60:61] offset0:40 offset1:50
	;; [unrolled: 1-line block ×4, first 2 shown]
	ds_write2_b64 v34, v[123:124], v[42:43] offset1:10
	ds_write2_b64 v34, v[125:126], v[127:128] offset0:20 offset1:30
	ds_write2_b64 v34, v[26:27], v[28:29] offset0:40 offset1:50
	;; [unrolled: 1-line block ×4, first 2 shown]
	v_add_u32_e32 v34, 0xffffff9c, v92
	v_cndmask_b32_e64 v109, v34, v92, s[0:1]
	v_mul_i32_i24_e32 v34, 9, v109
	v_mov_b32_e32 v35, 0
	v_lshlrev_b64 v[42:43], 4, v[34:35]
	v_mov_b32_e32 v34, s13
	v_add_co_u32_e64 v135, s[0:1], s12, v42
	v_addc_co_u32_e64 v136, s[0:1], v34, v43, s[0:1]
	s_waitcnt lgkmcnt(0)
	s_barrier
	ds_read_b64 v[62:63], v101
	ds_read_b64 v[32:33], v102
	;; [unrolled: 1-line block ×3, first 2 shown]
	ds_read2_b64 v[36:39], v98 offset0:40 offset1:240
	ds_read2_b64 v[56:59], v104 offset0:24 offset1:224
	;; [unrolled: 1-line block ×7, first 2 shown]
	ds_read_b64 v[28:29], v108
	ds_read_b64 v[145:146], v101 offset:4800
	ds_read_b64 v[88:89], v101 offset:30400
	global_load_dwordx4 v[42:45], v[135:136], off offset:1488
	global_load_dwordx4 v[68:71], v[135:136], off offset:1472
	;; [unrolled: 1-line block ×4, first 2 shown]
	s_movk_i32 s0, 0x63
	v_cmp_lt_u32_e64 s[0:1], s0, v92
	s_waitcnt vmcnt(0) lgkmcnt(11)
	v_mul_f64 v[52:53], v[32:33], v[74:75]
	v_fma_f64 v[52:53], v[40:41], v[72:73], v[52:53]
	v_mul_f64 v[40:41], v[40:41], v[74:75]
	v_fma_f64 v[40:41], v[32:33], v[72:73], -v[40:41]
	s_waitcnt lgkmcnt(10)
	v_mul_f64 v[32:33], v[50:51], v[48:49]
	v_fma_f64 v[76:77], v[54:55], v[46:47], v[32:33]
	v_mul_f64 v[32:33], v[54:55], v[48:49]
	v_fma_f64 v[64:65], v[50:51], v[46:47], -v[32:33]
	s_waitcnt lgkmcnt(9)
	v_mul_f64 v[32:33], v[38:39], v[70:71]
	v_fma_f64 v[48:49], v[113:114], v[68:69], v[32:33]
	v_mul_f64 v[32:33], v[113:114], v[70:71]
	v_fma_f64 v[38:39], v[38:39], v[68:69], -v[32:33]
	s_waitcnt lgkmcnt(8)
	v_mul_f64 v[32:33], v[58:59], v[44:45]
	v_fma_f64 v[74:75], v[117:118], v[42:43], v[32:33]
	v_mul_f64 v[32:33], v[117:118], v[44:45]
	v_fma_f64 v[68:69], v[58:59], v[42:43], -v[32:33]
	global_load_dwordx4 v[58:61], v[135:136], off offset:1552
	global_load_dwordx4 v[44:47], v[135:136], off offset:1536
	;; [unrolled: 1-line block ×4, first 2 shown]
	s_waitcnt vmcnt(0) lgkmcnt(7)
	v_mul_f64 v[32:33], v[125:126], v[133:134]
	v_fma_f64 v[50:51], v[121:122], v[131:132], v[32:33]
	v_mul_f64 v[32:33], v[121:122], v[133:134]
	v_fma_f64 v[42:43], v[125:126], v[131:132], -v[32:33]
	s_waitcnt lgkmcnt(6)
	v_mul_f64 v[32:33], v[129:130], v[72:73]
	v_fma_f64 v[78:79], v[14:15], v[70:71], v[32:33]
	v_mul_f64 v[14:15], v[14:15], v[72:73]
	v_fma_f64 v[70:71], v[129:130], v[70:71], -v[14:15]
	global_load_dwordx4 v[129:132], v[135:136], off offset:1568
	s_waitcnt lgkmcnt(5)
	v_mul_f64 v[14:15], v[26:27], v[46:47]
	v_fma_f64 v[54:55], v[10:11], v[44:45], v[14:15]
	v_mul_f64 v[10:11], v[10:11], v[46:47]
	v_fma_f64 v[44:45], v[26:27], v[44:45], -v[10:11]
	s_waitcnt lgkmcnt(4)
	v_mul_f64 v[10:11], v[22:23], v[60:61]
	v_fma_f64 v[84:85], v[6:7], v[58:59], v[10:11]
	v_mul_f64 v[6:7], v[6:7], v[60:61]
	v_fma_f64 v[72:73], v[22:23], v[58:59], -v[6:7]
	s_waitcnt vmcnt(0) lgkmcnt(3)
	v_mul_f64 v[6:7], v[18:19], v[131:132]
	v_fma_f64 v[58:59], v[2:3], v[129:130], v[6:7]
	v_mul_f64 v[2:3], v[2:3], v[131:132]
	v_fma_f64 v[46:47], v[18:19], v[129:130], -v[2:3]
	v_lshrrev_b16_e32 v2, 2, v93
	v_mul_u32_u24_e32 v2, 0x147b, v2
	v_lshrrev_b32_e32 v34, 17, v2
	v_mul_lo_u16_e32 v2, 0x64, v34
	v_sub_u16_e32 v110, v93, v2
	v_mul_u32_u24_e32 v2, 9, v110
	v_lshlrev_b32_e32 v147, 4, v2
	global_load_dwordx4 v[129:132], v147, s[12:13] offset:1488
	global_load_dwordx4 v[133:136], v147, s[12:13] offset:1472
	;; [unrolled: 1-line block ×4, first 2 shown]
	s_waitcnt vmcnt(3)
	v_mul_f64 v[22:23], v[123:124], v[131:132]
	s_waitcnt vmcnt(0) lgkmcnt(1)
	v_mul_f64 v[2:3], v[145:146], v[143:144]
	v_fma_f64 v[14:15], v[90:91], v[141:142], v[2:3]
	v_mul_f64 v[2:3], v[90:91], v[143:144]
	v_fma_f64 v[6:7], v[145:146], v[141:142], -v[2:3]
	v_mul_f64 v[2:3], v[36:37], v[139:140]
	v_fma_f64 v[32:33], v[111:112], v[137:138], v[2:3]
	v_mul_f64 v[2:3], v[111:112], v[139:140]
	v_fma_f64 v[18:19], v[36:37], v[137:138], -v[2:3]
	v_mul_f64 v[2:3], v[56:57], v[135:136]
	v_fma_f64 v[36:37], v[119:120], v[129:130], v[22:23]
	v_mul_f64 v[22:23], v[119:120], v[131:132]
	v_fma_f64 v[10:11], v[115:116], v[133:134], v[2:3]
	v_mul_f64 v[2:3], v[115:116], v[135:136]
	v_fma_f64 v[22:23], v[123:124], v[129:130], -v[22:23]
	global_load_dwordx4 v[111:114], v147, s[12:13] offset:1552
	global_load_dwordx4 v[115:118], v147, s[12:13] offset:1536
	;; [unrolled: 1-line block ×4, first 2 shown]
	v_fma_f64 v[2:3], v[56:57], v[133:134], -v[2:3]
	s_waitcnt vmcnt(1)
	v_mul_f64 v[56:57], v[24:25], v[121:122]
	s_waitcnt vmcnt(0)
	v_mul_f64 v[26:27], v[127:128], v[125:126]
	v_fma_f64 v[56:57], v[8:9], v[119:120], v[56:57]
	v_mul_f64 v[8:9], v[8:9], v[121:122]
	v_fma_f64 v[26:27], v[12:13], v[123:124], v[26:27]
	v_mul_f64 v[12:13], v[12:13], v[125:126]
	v_fma_f64 v[24:25], v[24:25], v[119:120], -v[8:9]
	v_mul_f64 v[8:9], v[20:21], v[117:118]
	v_add_f64 v[119:120], v[78:79], -v[84:85]
	v_fma_f64 v[12:13], v[127:128], v[123:124], -v[12:13]
	v_fma_f64 v[8:9], v[4:5], v[115:116], v[8:9]
	v_mul_f64 v[4:5], v[4:5], v[117:118]
	v_add_f64 v[117:118], v[84:85], -v[78:79]
	v_fma_f64 v[4:5], v[20:21], v[115:116], -v[4:5]
	v_mul_f64 v[20:21], v[16:17], v[113:114]
	v_add_f64 v[115:116], v[76:77], -v[74:75]
	v_fma_f64 v[60:61], v[0:1], v[111:112], v[20:21]
	v_mul_f64 v[0:1], v[0:1], v[113:114]
	v_add_f64 v[115:116], v[115:116], v[117:118]
	v_add_f64 v[117:118], v[74:75], -v[76:77]
	v_fma_f64 v[20:21], v[16:17], v[111:112], -v[0:1]
	global_load_dwordx4 v[111:114], v147, s[12:13] offset:1568
	v_add_f64 v[117:118], v[117:118], v[119:120]
	v_add_f64 v[119:120], v[54:55], -v[58:59]
	s_waitcnt vmcnt(0) lgkmcnt(0)
	s_barrier
	v_mul_f64 v[0:1], v[88:89], v[113:114]
	v_fma_f64 v[16:17], v[86:87], v[111:112], v[0:1]
	v_mul_f64 v[0:1], v[86:87], v[113:114]
	v_add_f64 v[113:114], v[68:69], -v[70:71]
	v_add_f64 v[86:87], v[66:67], v[76:77]
	v_fma_f64 v[0:1], v[88:89], v[111:112], -v[0:1]
	v_add_f64 v[88:89], v[74:75], v[78:79]
	v_add_f64 v[111:112], v[64:65], -v[72:73]
	v_add_f64 v[86:87], v[86:87], v[74:75]
	v_add_f64 v[74:75], v[74:75], -v[78:79]
	v_fma_f64 v[90:91], v[88:89], -0.5, v[66:67]
	v_add_f64 v[86:87], v[86:87], v[78:79]
	v_fma_f64 v[88:89], v[111:112], s[16:17], v[90:91]
	v_fma_f64 v[90:91], v[111:112], s[8:9], v[90:91]
	v_add_f64 v[86:87], v[86:87], v[84:85]
	v_fma_f64 v[88:89], v[113:114], s[18:19], v[88:89]
	v_fma_f64 v[90:91], v[113:114], s[6:7], v[90:91]
	;; [unrolled: 1-line block ×4, first 2 shown]
	v_add_f64 v[115:116], v[76:77], v[84:85]
	v_add_f64 v[76:77], v[76:77], -v[84:85]
	v_fma_f64 v[66:67], v[115:116], -0.5, v[66:67]
	v_fma_f64 v[115:116], v[113:114], s[8:9], v[66:67]
	v_fma_f64 v[66:67], v[113:114], s[16:17], v[66:67]
	v_add_f64 v[113:114], v[68:69], v[70:71]
	v_fma_f64 v[115:116], v[111:112], s[18:19], v[115:116]
	v_fma_f64 v[66:67], v[111:112], s[6:7], v[66:67]
	v_fma_f64 v[113:114], v[113:114], -0.5, v[62:63]
	v_add_f64 v[111:112], v[62:63], v[64:65]
	v_fma_f64 v[115:116], v[117:118], s[14:15], v[115:116]
	v_fma_f64 v[66:67], v[117:118], s[14:15], v[66:67]
	;; [unrolled: 1-line block ×3, first 2 shown]
	v_add_f64 v[117:118], v[72:73], -v[70:71]
	v_add_f64 v[111:112], v[111:112], v[68:69]
	v_fma_f64 v[78:79], v[74:75], s[6:7], v[84:85]
	v_add_f64 v[84:85], v[64:65], -v[68:69]
	v_add_f64 v[111:112], v[111:112], v[70:71]
	v_add_f64 v[84:85], v[84:85], v[117:118]
	;; [unrolled: 1-line block ×3, first 2 shown]
	v_fma_f64 v[117:118], v[84:85], s[14:15], v[78:79]
	v_fma_f64 v[78:79], v[76:77], s[16:17], v[113:114]
	;; [unrolled: 1-line block ×4, first 2 shown]
	v_add_f64 v[78:79], v[64:65], v[72:73]
	v_add_f64 v[64:65], v[68:69], -v[64:65]
	v_add_f64 v[68:69], v[70:71], -v[72:73]
	;; [unrolled: 1-line block ×4, first 2 shown]
	v_fma_f64 v[62:63], v[78:79], -0.5, v[62:63]
	v_add_f64 v[64:65], v[64:65], v[68:69]
	v_fma_f64 v[78:79], v[74:75], s[16:17], v[62:63]
	v_fma_f64 v[62:63], v[74:75], s[8:9], v[62:63]
	;; [unrolled: 1-line block ×4, first 2 shown]
	v_add_f64 v[76:77], v[42:43], -v[44:45]
	v_fma_f64 v[68:69], v[64:65], s[14:15], v[78:79]
	v_fma_f64 v[70:71], v[64:65], s[14:15], v[62:63]
	v_add_f64 v[64:65], v[50:51], v[54:55]
	v_add_f64 v[78:79], v[48:49], -v[50:51]
	v_add_f64 v[62:63], v[52:53], v[48:49]
	v_fma_f64 v[64:65], v[64:65], -0.5, v[52:53]
	v_add_f64 v[78:79], v[78:79], v[84:85]
	v_add_f64 v[84:85], v[50:51], -v[48:49]
	v_add_f64 v[62:63], v[62:63], v[50:51]
	v_add_f64 v[50:51], v[50:51], -v[54:55]
	v_fma_f64 v[74:75], v[72:73], s[16:17], v[64:65]
	v_fma_f64 v[64:65], v[72:73], s[8:9], v[64:65]
	v_add_f64 v[84:85], v[84:85], v[119:120]
	v_add_f64 v[62:63], v[62:63], v[54:55]
	v_fma_f64 v[74:75], v[76:77], s[18:19], v[74:75]
	v_fma_f64 v[64:65], v[76:77], s[6:7], v[64:65]
	v_add_f64 v[62:63], v[62:63], v[58:59]
	v_fma_f64 v[74:75], v[78:79], s[14:15], v[74:75]
	v_fma_f64 v[64:65], v[78:79], s[14:15], v[64:65]
	v_add_f64 v[78:79], v[48:49], v[58:59]
	v_add_f64 v[48:49], v[48:49], -v[58:59]
	v_fma_f64 v[52:53], v[78:79], -0.5, v[52:53]
	v_fma_f64 v[78:79], v[76:77], s[8:9], v[52:53]
	v_fma_f64 v[52:53], v[76:77], s[16:17], v[52:53]
	v_add_f64 v[76:77], v[46:47], -v[44:45]
	v_fma_f64 v[78:79], v[72:73], s[18:19], v[78:79]
	v_fma_f64 v[52:53], v[72:73], s[6:7], v[52:53]
	;; [unrolled: 1-line block ×4, first 2 shown]
	v_add_f64 v[52:53], v[40:41], v[38:39]
	v_add_f64 v[52:53], v[52:53], v[42:43]
	;; [unrolled: 1-line block ×5, first 2 shown]
	v_fma_f64 v[52:53], v[52:53], -0.5, v[40:41]
	v_fma_f64 v[58:59], v[48:49], s[8:9], v[52:53]
	v_fma_f64 v[52:53], v[48:49], s[16:17], v[52:53]
	;; [unrolled: 1-line block ×3, first 2 shown]
	v_add_f64 v[58:59], v[38:39], -v[42:43]
	v_fma_f64 v[52:53], v[50:51], s[18:19], v[52:53]
	v_add_f64 v[58:59], v[58:59], v[76:77]
	v_fma_f64 v[76:77], v[58:59], s[14:15], v[54:55]
	v_fma_f64 v[58:59], v[58:59], s[14:15], v[52:53]
	v_add_f64 v[52:53], v[38:39], v[46:47]
	v_add_f64 v[38:39], v[42:43], -v[38:39]
	v_add_f64 v[42:43], v[44:45], -v[46:47]
	v_fma_f64 v[40:41], v[52:53], -0.5, v[40:41]
	v_add_f64 v[38:39], v[38:39], v[42:43]
	v_mul_f64 v[42:43], v[76:77], s[20:21]
	v_fma_f64 v[52:53], v[50:51], s[16:17], v[40:41]
	v_fma_f64 v[40:41], v[50:51], s[8:9], v[40:41]
	;; [unrolled: 1-line block ×5, first 2 shown]
	v_add_f64 v[42:43], v[117:118], v[127:128]
	v_fma_f64 v[46:47], v[38:39], s[14:15], v[52:53]
	v_fma_f64 v[50:51], v[38:39], s[14:15], v[40:41]
	v_mul_f64 v[38:39], v[76:77], s[18:19]
	v_add_f64 v[40:41], v[86:87], v[62:63]
	v_add_f64 v[76:77], v[86:87], -v[62:63]
	v_add_f64 v[62:63], v[111:112], -v[119:120]
	v_add_f64 v[86:87], v[30:31], v[32:33]
	v_fma_f64 v[84:85], v[74:75], s[20:21], v[38:39]
	v_mul_f64 v[38:39], v[46:47], s[16:17]
	v_mul_f64 v[46:47], v[46:47], s[14:15]
	v_add_f64 v[86:87], v[86:87], v[36:37]
	v_add_f64 v[44:45], v[88:89], v[84:85]
	v_fma_f64 v[121:122], v[78:79], s[14:15], v[38:39]
	v_mul_f64 v[38:39], v[50:51], s[16:17]
	v_mul_f64 v[50:51], v[50:51], s[22:23]
	v_fma_f64 v[129:130], v[78:79], s[8:9], v[46:47]
	v_add_f64 v[86:87], v[86:87], v[56:57]
	v_add_f64 v[48:49], v[115:116], v[121:122]
	v_fma_f64 v[123:124], v[72:73], s[22:23], v[38:39]
	v_mul_f64 v[38:39], v[58:59], s[18:19]
	v_fma_f64 v[131:132], v[72:73], s[8:9], v[50:51]
	v_mul_f64 v[58:59], v[58:59], s[24:25]
	v_add_f64 v[72:73], v[88:89], -v[84:85]
	v_add_f64 v[88:89], v[36:37], v[56:57]
	v_add_f64 v[46:47], v[68:69], v[129:130]
	v_add_f64 v[78:79], v[115:116], -v[121:122]
	v_add_f64 v[52:53], v[66:67], v[123:124]
	v_fma_f64 v[125:126], v[64:65], s[24:25], v[38:39]
	v_add_f64 v[38:39], v[111:112], v[119:120]
	v_fma_f64 v[133:134], v[64:65], s[6:7], v[58:59]
	v_add_f64 v[111:112], v[18:19], -v[20:21]
	v_add_f64 v[50:51], v[70:71], v[131:132]
	v_add_f64 v[74:75], v[66:67], -v[123:124]
	v_add_f64 v[64:65], v[117:118], -v[127:128]
	;; [unrolled: 1-line block ×3, first 2 shown]
	v_add_f64 v[54:55], v[90:91], v[125:126]
	v_add_f64 v[84:85], v[90:91], -v[125:126]
	v_fma_f64 v[90:91], v[88:89], -0.5, v[30:31]
	v_add_f64 v[58:59], v[113:114], v[133:134]
	v_add_f64 v[68:69], v[70:71], -v[131:132]
	v_add_f64 v[70:71], v[113:114], -v[133:134]
	;; [unrolled: 1-line block ×6, first 2 shown]
	v_fma_f64 v[88:89], v[111:112], s[16:17], v[90:91]
	v_fma_f64 v[90:91], v[111:112], s[8:9], v[90:91]
	v_add_f64 v[86:87], v[86:87], v[60:61]
	v_add_f64 v[115:116], v[115:116], v[117:118]
	v_add_f64 v[117:118], v[36:37], -v[32:33]
	v_fma_f64 v[88:89], v[113:114], s[18:19], v[88:89]
	v_fma_f64 v[90:91], v[113:114], s[6:7], v[90:91]
	v_add_f64 v[36:37], v[36:37], -v[56:57]
	v_add_f64 v[117:118], v[117:118], v[119:120]
	v_fma_f64 v[88:89], v[115:116], s[14:15], v[88:89]
	v_fma_f64 v[90:91], v[115:116], s[14:15], v[90:91]
	v_add_f64 v[115:116], v[32:33], v[60:61]
	v_add_f64 v[32:33], v[32:33], -v[60:61]
	v_add_f64 v[119:120], v[8:9], -v[16:17]
	v_fma_f64 v[30:31], v[115:116], -0.5, v[30:31]
	v_fma_f64 v[115:116], v[113:114], s[8:9], v[30:31]
	v_fma_f64 v[30:31], v[113:114], s[16:17], v[30:31]
	v_add_f64 v[113:114], v[22:23], v[24:25]
	v_fma_f64 v[115:116], v[111:112], s[18:19], v[115:116]
	v_fma_f64 v[30:31], v[111:112], s[6:7], v[30:31]
	v_fma_f64 v[113:114], v[113:114], -0.5, v[28:29]
	v_add_f64 v[111:112], v[28:29], v[18:19]
	v_fma_f64 v[115:116], v[117:118], s[14:15], v[115:116]
	v_fma_f64 v[30:31], v[117:118], s[14:15], v[30:31]
	;; [unrolled: 1-line block ×3, first 2 shown]
	v_add_f64 v[117:118], v[20:21], -v[24:25]
	v_fma_f64 v[113:114], v[32:33], s[16:17], v[113:114]
	v_add_f64 v[111:112], v[111:112], v[22:23]
	v_fma_f64 v[56:57], v[36:37], s[6:7], v[60:61]
	v_add_f64 v[60:61], v[18:19], -v[22:23]
	v_fma_f64 v[113:114], v[36:37], s[18:19], v[113:114]
	v_add_f64 v[111:112], v[111:112], v[24:25]
	v_add_f64 v[60:61], v[60:61], v[117:118]
	v_add_f64 v[117:118], v[16:17], -v[8:9]
	v_add_f64 v[111:112], v[111:112], v[20:21]
	v_fma_f64 v[56:57], v[60:61], s[14:15], v[56:57]
	v_fma_f64 v[60:61], v[60:61], s[14:15], v[113:114]
	v_add_f64 v[113:114], v[18:19], v[20:21]
	v_add_f64 v[18:19], v[22:23], -v[18:19]
	v_add_f64 v[20:21], v[24:25], -v[20:21]
	v_add_f64 v[24:25], v[26:27], v[8:9]
	v_fma_f64 v[28:29], v[113:114], -0.5, v[28:29]
	v_add_f64 v[18:19], v[18:19], v[20:21]
	v_fma_f64 v[24:25], v[24:25], -0.5, v[14:15]
	v_fma_f64 v[113:114], v[36:37], s[16:17], v[28:29]
	v_fma_f64 v[22:23], v[36:37], s[8:9], v[28:29]
	v_add_f64 v[28:29], v[2:3], -v[0:1]
	v_add_f64 v[36:37], v[12:13], -v[4:5]
	v_fma_f64 v[113:114], v[32:33], s[6:7], v[113:114]
	v_fma_f64 v[22:23], v[32:33], s[18:19], v[22:23]
	;; [unrolled: 1-line block ×5, first 2 shown]
	v_add_f64 v[113:114], v[10:11], -v[26:27]
	v_fma_f64 v[32:33], v[36:37], s[18:19], v[32:33]
	v_fma_f64 v[24:25], v[36:37], s[6:7], v[24:25]
	;; [unrolled: 1-line block ×3, first 2 shown]
	v_add_f64 v[22:23], v[14:15], v[10:11]
	v_add_f64 v[113:114], v[113:114], v[117:118]
	v_add_f64 v[117:118], v[26:27], -v[10:11]
	v_add_f64 v[22:23], v[22:23], v[26:27]
	v_fma_f64 v[32:33], v[113:114], s[14:15], v[32:33]
	v_fma_f64 v[24:25], v[113:114], s[14:15], v[24:25]
	v_add_f64 v[113:114], v[10:11], v[16:17]
	v_add_f64 v[117:118], v[117:118], v[119:120]
	;; [unrolled: 1-line block ×3, first 2 shown]
	v_add_f64 v[10:11], v[10:11], -v[16:17]
	v_add_f64 v[8:9], v[26:27], -v[8:9]
	;; [unrolled: 1-line block ×3, first 2 shown]
	v_fma_f64 v[14:15], v[113:114], -0.5, v[14:15]
	v_add_f64 v[22:23], v[22:23], v[16:17]
	v_fma_f64 v[113:114], v[36:37], s[8:9], v[14:15]
	v_fma_f64 v[14:15], v[36:37], s[16:17], v[14:15]
	v_add_f64 v[36:37], v[12:13], v[4:5]
	v_fma_f64 v[113:114], v[28:29], s[18:19], v[113:114]
	v_fma_f64 v[14:15], v[28:29], s[6:7], v[14:15]
	v_fma_f64 v[36:37], v[36:37], -0.5, v[6:7]
	v_add_f64 v[28:29], v[6:7], v[2:3]
	v_fma_f64 v[113:114], v[117:118], s[14:15], v[113:114]
	v_fma_f64 v[14:15], v[117:118], s[14:15], v[14:15]
	v_fma_f64 v[16:17], v[10:11], s[8:9], v[36:37]
	v_add_f64 v[117:118], v[0:1], -v[4:5]
	v_fma_f64 v[36:37], v[10:11], s[16:17], v[36:37]
	v_add_f64 v[28:29], v[28:29], v[12:13]
	v_fma_f64 v[16:17], v[8:9], s[6:7], v[16:17]
	v_add_f64 v[26:27], v[26:27], v[117:118]
	;; [unrolled: 2-line block ×3, first 2 shown]
	v_fma_f64 v[16:17], v[26:27], s[14:15], v[16:17]
	v_fma_f64 v[26:27], v[26:27], s[14:15], v[36:37]
	v_add_f64 v[36:37], v[2:3], v[0:1]
	v_add_f64 v[28:29], v[28:29], v[0:1]
	v_add_f64 v[2:3], v[12:13], -v[2:3]
	v_add_f64 v[0:1], v[4:5], -v[0:1]
	v_mul_f64 v[119:120], v[26:27], s[18:19]
	v_fma_f64 v[6:7], v[36:37], -0.5, v[6:7]
	v_add_f64 v[123:124], v[111:112], v[28:29]
	v_add_f64 v[0:1], v[2:3], v[0:1]
	v_fma_f64 v[119:120], v[24:25], s[24:25], v[119:120]
	v_fma_f64 v[36:37], v[8:9], s[16:17], v[6:7]
	;; [unrolled: 1-line block ×3, first 2 shown]
	v_mul_f64 v[6:7], v[16:17], s[18:19]
	v_mul_f64 v[16:17], v[16:17], s[20:21]
	v_add_f64 v[121:122], v[90:91], v[119:120]
	v_fma_f64 v[36:37], v[10:11], s[6:7], v[36:37]
	v_fma_f64 v[4:5], v[10:11], s[18:19], v[4:5]
	;; [unrolled: 1-line block ×6, first 2 shown]
	v_add_f64 v[4:5], v[86:87], v[22:23]
	v_add_f64 v[8:9], v[88:89], v[6:7]
	v_add_f64 v[22:23], v[86:87], -v[22:23]
	v_add_f64 v[6:7], v[88:89], -v[6:7]
	;; [unrolled: 1-line block ×3, first 2 shown]
	v_add_f64 v[125:126], v[56:57], v[16:17]
	v_mul_f64 v[10:11], v[2:3], s[16:17]
	v_mul_f64 v[36:37], v[0:1], s[16:17]
	;; [unrolled: 1-line block ×4, first 2 shown]
	v_add_f64 v[56:57], v[56:57], -v[16:17]
	v_fma_f64 v[10:11], v[113:114], s[14:15], v[10:11]
	v_fma_f64 v[36:37], v[14:15], s[22:23], v[36:37]
	;; [unrolled: 1-line block ×3, first 2 shown]
	v_mul_f64 v[14:15], v[26:27], s[24:25]
	v_fma_f64 v[2:3], v[113:114], s[8:9], v[2:3]
	v_add_f64 v[26:27], v[90:91], -v[119:120]
	v_add_f64 v[12:13], v[115:116], v[10:11]
	v_add_f64 v[117:118], v[30:31], v[36:37]
	v_add_f64 v[10:11], v[115:116], -v[10:11]
	v_fma_f64 v[14:15], v[24:25], s[6:7], v[14:15]
	v_add_f64 v[24:25], v[30:31], -v[36:37]
	v_add_f64 v[127:128], v[18:19], v[0:1]
	v_add_f64 v[90:91], v[18:19], -v[0:1]
	v_mov_b32_e32 v0, 0x1f40
	v_cndmask_b32_e64 v0, 0, v0, s[0:1]
	v_lshlrev_b32_e32 v1, 3, v109
	v_add3_u32 v109, 0, v0, v1
	v_add_u32_e32 v111, 0x400, v109
	ds_write2_b64 v111, v[48:49], v[52:53] offset0:72 offset1:172
	v_add_u32_e32 v53, 0x800, v109
	v_mul_u32_u24_e32 v0, 0x1f40, v34
	v_lshlrev_b32_e32 v1, 3, v110
	ds_write2_b64 v53, v[54:55], v[76:77] offset0:144 offset1:244
	v_add_u32_e32 v54, 0x1000, v109
	v_add_u32_e32 v55, 0x1800, v109
	v_add3_u32 v34, 0, v0, v1
	ds_write2_b64 v109, v[40:41], v[44:45] offset1:100
	ds_write2_b64 v54, v[72:73], v[78:79] offset0:88 offset1:188
	ds_write2_b64 v55, v[74:75], v[84:85] offset0:32 offset1:132
	ds_write2_b64 v34, v[4:5], v[8:9] offset1:100
	v_add_u32_e32 v8, 0x400, v34
	v_add_u32_e32 v9, 0x800, v34
	;; [unrolled: 1-line block ×4, first 2 shown]
	v_add_f64 v[113:114], v[20:21], v[2:3]
	v_add_f64 v[129:130], v[60:61], v[14:15]
	v_add_f64 v[88:89], v[20:21], -v[2:3]
	v_add_f64 v[60:61], v[60:61], -v[14:15]
	ds_write2_b64 v8, v[12:13], v[117:118] offset0:72 offset1:172
	ds_write2_b64 v9, v[121:122], v[22:23] offset0:144 offset1:244
	;; [unrolled: 1-line block ×4, first 2 shown]
	s_waitcnt lgkmcnt(0)
	s_barrier
	ds_read_b64 v[36:37], v101
	ds_read2_b64 v[10:13], v98 offset0:40 offset1:240
	ds_read2_b64 v[2:5], v105 offset0:8 offset1:208
	;; [unrolled: 1-line block ×3, first 2 shown]
	ds_read_b64 v[40:41], v108
	ds_read2_b64 v[26:29], v100 offset0:24 offset1:224
	ds_read_b64 v[44:45], v102
	ds_read2_b64 v[18:21], v104 offset0:24 offset1:224
	ds_read2_b64 v[30:33], v107 offset0:8 offset1:208
	v_lshl_add_u32 v52, v96, 3, 0
	ds_read_b64 v[48:49], v52
	ds_read2_b64 v[22:25], v106 offset0:40 offset1:240
	ds_read_b64 v[0:1], v103
	ds_read_b64 v[6:7], v101 offset:30400
	s_waitcnt lgkmcnt(0)
	s_barrier
	ds_write2_b64 v109, v[38:39], v[42:43] offset1:100
	ds_write2_b64 v111, v[46:47], v[50:51] offset0:72 offset1:172
	ds_write2_b64 v53, v[58:59], v[62:63] offset0:144 offset1:244
	;; [unrolled: 1-line block ×4, first 2 shown]
	ds_write2_b64 v34, v[123:124], v[125:126] offset1:100
	ds_write2_b64 v8, v[113:114], v[127:128] offset0:72 offset1:172
	ds_write2_b64 v9, v[129:130], v[86:87] offset0:144 offset1:244
	;; [unrolled: 1-line block ×4, first 2 shown]
	s_waitcnt lgkmcnt(0)
	s_barrier
	s_and_saveexec_b64 s[0:1], vcc
	s_cbranch_execz .LBB0_15
; %bb.14:
	v_mul_i32_i24_e32 v34, 3, v95
	v_lshlrev_b64 v[8:9], 4, v[34:35]
	v_mov_b32_e32 v79, s13
	v_add_co_u32_e32 v34, vcc, s12, v8
	v_addc_co_u32_e32 v38, vcc, v79, v9, vcc
	s_movk_i32 s0, 0x3de0
	v_add_co_u32_e32 v8, vcc, s0, v34
	v_addc_co_u32_e32 v9, vcc, 0, v38, vcc
	s_movk_i32 s1, 0x3000
	global_load_dwordx4 v[53:56], v[8:9], off offset:32
	global_load_dwordx4 v[57:60], v[8:9], off offset:16
	v_add_co_u32_e32 v8, vcc, s1, v34
	v_addc_co_u32_e32 v9, vcc, 0, v38, vcc
	global_load_dwordx4 v[61:64], v[8:9], off offset:3552
	v_mul_i32_i24_e32 v34, 3, v96
	v_lshlrev_b64 v[8:9], 4, v[34:35]
	v_mul_lo_u32 v50, s5, v82
	v_add_co_u32_e32 v34, vcc, s12, v8
	v_addc_co_u32_e32 v38, vcc, v79, v9, vcc
	v_add_co_u32_e32 v8, vcc, s1, v34
	v_addc_co_u32_e32 v9, vcc, 0, v38, vcc
	global_load_dwordx4 v[65:68], v[8:9], off offset:3552
	v_add_co_u32_e32 v8, vcc, s0, v34
	v_addc_co_u32_e32 v9, vcc, 0, v38, vcc
	global_load_dwordx4 v[69:72], v[8:9], off offset:32
	global_load_dwordx4 v[73:76], v[8:9], off offset:16
	v_mul_i32_i24_e32 v34, 3, v94
	v_lshlrev_b64 v[38:39], 4, v[34:35]
	v_mul_i32_i24_e32 v34, 3, v93
	v_add_co_u32_e32 v46, vcc, s12, v38
	v_addc_co_u32_e32 v47, vcc, v79, v39, vcc
	v_add_co_u32_e32 v8, vcc, s1, v46
	v_addc_co_u32_e32 v9, vcc, 0, v47, vcc
	global_load_dwordx4 v[84:87], v[8:9], off offset:3552
	v_lshlrev_b64 v[34:35], 4, v[34:35]
	v_add_co_u32_e32 v46, vcc, s0, v46
	v_addc_co_u32_e32 v47, vcc, 0, v47, vcc
	v_mul_lo_u32 v51, s4, v83
	v_mad_u64_u32 v[124:125], s[4:5], s4, v82, 0
	v_add_co_u32_e32 v82, vcc, s12, v34
	ds_read2_b64 v[88:91], v106 offset0:40 offset1:240
	ds_read2_b64 v[108:111], v105 offset0:8 offset1:208
	;; [unrolled: 1-line block ×4, first 2 shown]
	ds_read_b64 v[8:9], v103
	ds_read_b64 v[38:39], v102
	ds_read_b64 v[42:43], v101 offset:30400
	ds_read_b64 v[94:95], v101
	v_addc_co_u32_e32 v83, vcc, v79, v35, vcc
	global_load_dwordx4 v[116:119], v[46:47], off offset:32
	global_load_dwordx4 v[120:123], v[46:47], off offset:16
	v_add3_u32 v125, v125, v51, v50
	v_add_co_u32_e32 v50, vcc, s0, v82
	v_addc_co_u32_e32 v51, vcc, 0, v83, vcc
	s_waitcnt vmcnt(7)
	v_mul_f64 v[34:35], v[24:25], v[59:60]
	s_waitcnt lgkmcnt(7)
	v_mul_f64 v[46:47], v[90:91], v[59:60]
	v_mul_f64 v[59:60], v[6:7], v[53:54]
	;; [unrolled: 1-line block ×3, first 2 shown]
	s_waitcnt vmcnt(6)
	v_mul_f64 v[77:78], v[2:3], v[63:64]
	v_mul_f64 v[2:3], v[2:3], v[61:62]
	v_fma_f64 v[34:35], v[90:91], v[57:58], -v[34:35]
	v_fma_f64 v[24:25], v[24:25], v[57:58], v[46:47]
	s_waitcnt lgkmcnt(1)
	v_fma_f64 v[55:56], v[42:43], v[55:56], v[59:60]
	v_fma_f64 v[6:7], v[42:43], v[53:54], -v[6:7]
	v_add_co_u32_e32 v46, vcc, s1, v82
	v_fma_f64 v[42:43], v[108:109], v[61:62], -v[77:78]
	v_fma_f64 v[2:3], v[108:109], v[63:64], v[2:3]
	v_add_f64 v[77:78], v[8:9], -v[34:35]
	s_waitcnt vmcnt(5)
	v_mul_f64 v[53:54], v[20:21], v[65:66]
	v_addc_co_u32_e32 v47, vcc, 0, v83, vcc
	v_mul_f64 v[20:21], v[20:21], v[67:68]
	v_add_f64 v[24:25], v[0:1], -v[24:25]
	v_add_f64 v[6:7], v[42:43], -v[6:7]
	;; [unrolled: 1-line block ×3, first 2 shown]
	s_waitcnt vmcnt(4)
	v_mul_f64 v[61:62], v[32:33], v[69:70]
	v_mul_f64 v[63:64], v[32:33], v[71:72]
	v_fma_f64 v[90:91], v[114:115], v[67:68], v[53:54]
	global_load_dwordx4 v[32:35], v[50:51], off offset:32
	global_load_dwordx4 v[53:56], v[50:51], off offset:16
	v_fma_f64 v[50:51], v[8:9], 2.0, -v[77:78]
	v_fma_f64 v[101:102], v[114:115], v[65:66], -v[20:21]
	v_fma_f64 v[8:9], v[42:43], 2.0, -v[6:7]
	v_fma_f64 v[65:66], v[0:1], 2.0, -v[24:25]
	;; [unrolled: 1-line block ×3, first 2 shown]
	global_load_dwordx4 v[57:60], v[46:47], off offset:3552
	v_fma_f64 v[42:43], v[106:107], v[71:72], v[61:62]
	v_fma_f64 v[46:47], v[106:107], v[69:70], -v[63:64]
	v_add_f64 v[2:3], v[77:78], -v[82:83]
	v_add_f64 v[0:1], v[24:25], v[6:7]
	v_add_f64 v[8:9], v[50:51], -v[8:9]
	s_waitcnt vmcnt(5)
	v_mul_f64 v[82:83], v[18:19], v[84:85]
	v_mul_f64 v[106:107], v[18:19], v[86:87]
	;; [unrolled: 1-line block ×4, first 2 shown]
	v_add_f64 v[6:7], v[65:66], -v[20:21]
	v_fma_f64 v[20:21], v[77:78], 2.0, -v[2:3]
	v_add_f64 v[42:43], v[90:91], -v[42:43]
	v_add_f64 v[46:47], v[101:102], -v[46:47]
	v_fma_f64 v[86:87], v[112:113], v[86:87], v[82:83]
	v_fma_f64 v[82:83], v[112:113], v[84:85], -v[106:107]
	v_fma_f64 v[108:109], v[22:23], v[73:74], v[18:19]
	v_fma_f64 v[18:19], v[24:25], 2.0, -v[0:1]
	v_fma_f64 v[24:25], v[50:51], 2.0, -v[8:9]
	v_mul_u32_u24_e32 v50, 3, v92
	v_lshlrev_b32_e32 v50, 4, v50
	v_fma_f64 v[88:89], v[88:89], v[73:74], -v[61:62]
	v_add_co_u32_e32 v61, vcc, s12, v50
	v_addc_co_u32_e32 v62, vcc, 0, v79, vcc
	v_add_co_u32_e32 v50, vcc, s0, v61
	v_addc_co_u32_e32 v51, vcc, 0, v62, vcc
	v_add_co_u32_e32 v73, vcc, s1, v61
	v_fma_f64 v[22:23], v[65:66], 2.0, -v[6:7]
	v_addc_co_u32_e32 v74, vcc, 0, v62, vcc
	global_load_dwordx4 v[61:64], v[50:51], off offset:16
	global_load_dwordx4 v[65:68], v[73:74], off offset:3552
	;; [unrolled: 1-line block ×3, first 2 shown]
	ds_read_b64 v[50:51], v52
	ds_read2_b64 v[73:76], v100 offset0:24 offset1:224
	s_waitcnt vmcnt(6)
	v_mul_f64 v[84:85], v[28:29], v[122:123]
	v_mul_f64 v[106:107], v[30:31], v[118:119]
	v_fma_f64 v[100:101], v[101:102], 2.0, -v[46:47]
	s_waitcnt lgkmcnt(1)
	v_add_f64 v[77:78], v[50:51], -v[88:89]
	v_mul_f64 v[88:89], v[30:31], v[116:117]
	s_waitcnt lgkmcnt(0)
	v_mul_f64 v[30:31], v[75:76], v[122:123]
	v_add_f64 v[108:109], v[48:49], -v[108:109]
	v_mul_i32_i24_e32 v52, 0xffffffb8, v93
	v_fma_f64 v[75:76], v[75:76], v[120:121], -v[84:85]
	v_fma_f64 v[102:103], v[104:105], v[116:117], -v[106:107]
	v_add_u32_e32 v52, v97, v52
	v_fma_f64 v[112:113], v[50:51], 2.0, -v[77:78]
	v_fma_f64 v[88:89], v[104:105], v[118:119], v[88:89]
	v_fma_f64 v[84:85], v[28:29], v[120:121], v[30:31]
	v_add_f64 v[30:31], v[77:78], -v[42:43]
	v_fma_f64 v[42:43], v[90:91], 2.0, -v[42:43]
	v_fma_f64 v[90:91], v[48:49], 2.0, -v[108:109]
	v_add_f64 v[102:103], v[82:83], -v[102:103]
	v_add_f64 v[28:29], v[108:109], v[46:47]
	s_mov_b32 s0, 0x10624dd3
	v_add_f64 v[88:89], v[86:87], -v[88:89]
	v_add_f64 v[104:105], v[44:45], -v[84:85]
	v_fma_f64 v[50:51], v[77:78], 2.0, -v[30:31]
	v_add_f64 v[77:78], v[112:113], -v[100:101]
	v_add_f64 v[100:101], v[38:39], -v[75:76]
	v_fma_f64 v[106:107], v[82:83], 2.0, -v[102:103]
	v_add_f64 v[75:76], v[90:91], -v[42:43]
	v_fma_f64 v[48:49], v[108:109], 2.0, -v[28:29]
	s_movk_i32 s1, 0xfa0
	v_fma_f64 v[108:109], v[44:45], 2.0, -v[104:105]
	v_fma_f64 v[46:47], v[112:113], 2.0, -v[77:78]
	;; [unrolled: 1-line block ×3, first 2 shown]
	s_waitcnt vmcnt(5)
	v_mul_f64 v[116:117], v[16:17], v[32:33]
	s_waitcnt vmcnt(4)
	v_mul_f64 v[84:85], v[26:27], v[55:56]
	v_mul_f64 v[55:56], v[73:74], v[55:56]
	;; [unrolled: 1-line block ×3, first 2 shown]
	s_waitcnt vmcnt(3)
	v_mul_f64 v[114:115], v[12:13], v[57:58]
	v_mul_f64 v[12:13], v[12:13], v[59:60]
	v_fma_f64 v[112:113], v[73:74], v[53:54], -v[84:85]
	v_fma_f64 v[73:74], v[86:87], 2.0, -v[88:89]
	v_fma_f64 v[26:27], v[26:27], v[53:54], v[55:56]
	v_add_f64 v[54:55], v[100:101], -v[88:89]
	v_add_f64 v[88:89], v[38:39], -v[106:107]
	ds_read2_b64 v[42:45], v98 offset0:40 offset1:240
	ds_read2_b64 v[82:85], v99 offset0:24 offset1:224
	ds_read_b64 v[96:97], v52
	v_add_f64 v[52:53], v[104:105], v[102:103]
	s_waitcnt lgkmcnt(2)
	v_fma_f64 v[98:99], v[44:45], v[59:60], v[114:115]
	s_waitcnt lgkmcnt(1)
	v_fma_f64 v[114:115], v[84:85], v[34:35], v[116:117]
	v_fma_f64 v[106:107], v[44:45], v[57:58], -v[12:13]
	v_fma_f64 v[16:17], v[84:85], v[32:33], -v[16:17]
	v_fma_f64 v[44:45], v[90:91], 2.0, -v[75:76]
	v_fma_f64 v[58:59], v[38:39], 2.0, -v[88:89]
	v_add_f64 v[86:87], v[108:109], -v[73:74]
	s_waitcnt lgkmcnt(0)
	v_add_f64 v[73:74], v[96:97], -v[112:113]
	v_add_f64 v[26:27], v[40:41], -v[26:27]
	;; [unrolled: 1-line block ×3, first 2 shown]
	v_fma_f64 v[34:35], v[100:101], 2.0, -v[54:55]
	v_add_f64 v[16:17], v[106:107], -v[16:17]
	v_fma_f64 v[32:33], v[104:105], 2.0, -v[52:53]
	v_fma_f64 v[56:57], v[108:109], 2.0, -v[86:87]
	v_fma_f64 v[96:97], v[96:97], 2.0, -v[73:74]
	v_add_f64 v[12:13], v[73:74], -v[102:103]
	v_fma_f64 v[100:101], v[106:107], 2.0, -v[16:17]
	s_waitcnt vmcnt(2)
	v_mul_f64 v[38:39], v[4:5], v[63:64]
	s_waitcnt vmcnt(1)
	v_mul_f64 v[84:85], v[10:11], v[67:68]
	;; [unrolled: 2-line block ×3, first 2 shown]
	v_mul_f64 v[10:11], v[10:11], v[65:66]
	v_mul_f64 v[14:15], v[14:15], v[69:70]
	;; [unrolled: 1-line block ×3, first 2 shown]
	v_fma_f64 v[38:39], v[110:111], v[61:62], -v[38:39]
	v_fma_f64 v[65:66], v[42:43], v[65:66], -v[84:85]
	v_fma_f64 v[69:70], v[82:83], v[69:70], -v[90:91]
	v_fma_f64 v[42:43], v[42:43], v[67:68], v[10:11]
	v_fma_f64 v[14:15], v[82:83], v[71:72], v[14:15]
	;; [unrolled: 1-line block ×3, first 2 shown]
	v_add_f64 v[10:11], v[26:27], v[16:17]
	v_fma_f64 v[60:61], v[40:41], 2.0, -v[26:27]
	v_add_f64 v[82:83], v[94:95], -v[38:39]
	v_fma_f64 v[40:41], v[73:74], 2.0, -v[12:13]
	v_add_f64 v[68:69], v[65:66], -v[69:70]
	;; [unrolled: 2-line block ×3, first 2 shown]
	v_add_f64 v[4:5], v[36:37], -v[4:5]
	v_fma_f64 v[38:39], v[26:27], 2.0, -v[10:11]
	v_mul_hi_u32 v74, v92, s0
	v_fma_f64 v[26:27], v[94:95], 2.0, -v[82:83]
	v_add_f64 v[16:17], v[96:97], -v[100:101]
	v_fma_f64 v[72:73], v[65:66], 2.0, -v[68:69]
	v_add_f64 v[14:15], v[60:61], -v[70:71]
	v_fma_f64 v[42:43], v[42:43], 2.0, -v[84:85]
	v_fma_f64 v[36:37], v[36:37], 2.0, -v[4:5]
	v_add_f64 v[66:67], v[82:83], -v[84:85]
	v_add_f64 v[64:65], v[4:5], v[68:69]
	v_lshrrev_b32_e32 v68, 6, v74
	v_mul_u32_u24_e32 v68, 0x3e8, v68
	v_add_f64 v[70:71], v[26:27], -v[72:73]
	v_sub_u32_e32 v74, v92, v68
	v_fma_f64 v[62:63], v[96:97], 2.0, -v[16:17]
	v_add_f64 v[68:69], v[36:37], -v[42:43]
	v_fma_f64 v[84:85], v[82:83], 2.0, -v[66:67]
	v_fma_f64 v[82:83], v[4:5], 2.0, -v[64:65]
	v_lshlrev_b64 v[4:5], 4, v[124:125]
	v_mad_u64_u32 v[72:73], s[4:5], s2, v74, 0
	v_fma_f64 v[95:96], v[26:27], 2.0, -v[70:71]
	v_mov_b32_e32 v26, s11
	v_add_co_u32_e32 v27, vcc, s10, v4
	v_addc_co_u32_e32 v26, vcc, v26, v5, vcc
	v_lshlrev_b64 v[4:5], 4, v[80:81]
	v_fma_f64 v[93:94], v[36:37], 2.0, -v[68:69]
	v_add_co_u32_e32 v79, vcc, v27, v4
	v_add_u32_e32 v36, 0x3e8, v74
	v_mov_b32_e32 v42, v73
	v_addc_co_u32_e32 v80, vcc, v26, v5, vcc
	v_mad_u64_u32 v[26:27], s[4:5], s2, v36, 0
	v_mad_u64_u32 v[42:43], s[4:5], s3, v74, v[42:43]
	;; [unrolled: 1-line block ×3, first 2 shown]
	v_mov_b32_e32 v73, v42
	v_add_u32_e32 v37, 0x7d0, v74
	v_lshlrev_b64 v[4:5], 4, v[72:73]
	v_mad_u64_u32 v[42:43], s[4:5], s2, v37, 0
	v_add_co_u32_e32 v4, vcc, v79, v4
	v_addc_co_u32_e32 v5, vcc, v80, v5, vcc
	v_mov_b32_e32 v27, v36
	global_store_dwordx4 v[4:5], v[93:96], off
	v_lshlrev_b64 v[4:5], 4, v[26:27]
	v_mov_b32_e32 v26, v43
	v_mad_u64_u32 v[26:27], s[4:5], s3, v37, v[26:27]
	v_add_co_u32_e32 v4, vcc, v79, v4
	v_addc_co_u32_e32 v5, vcc, v80, v5, vcc
	v_mov_b32_e32 v43, v26
	global_store_dwordx4 v[4:5], v[82:85], off
	v_lshlrev_b64 v[4:5], 4, v[42:43]
	v_add_u32_e32 v36, 0xbb8, v74
	v_add_u32_e32 v42, 0xc8, v92
	v_mad_u64_u32 v[26:27], s[4:5], s2, v36, 0
	v_mul_hi_u32 v43, v42, s0
	v_add_co_u32_e32 v4, vcc, v79, v4
	v_mad_u64_u32 v[36:37], s[4:5], s3, v36, v[27:28]
	v_lshrrev_b32_e32 v27, 6, v43
	v_mul_u32_u24_e32 v37, 0x3e8, v27
	v_sub_u32_e32 v37, v42, v37
	v_mad_u32_u24 v72, v27, s1, v37
	v_mad_u64_u32 v[42:43], s[4:5], s2, v72, 0
	v_addc_co_u32_e32 v5, vcc, v80, v5, vcc
	v_mov_b32_e32 v27, v36
	global_store_dwordx4 v[4:5], v[68:71], off
	v_lshlrev_b64 v[4:5], 4, v[26:27]
	v_mov_b32_e32 v26, v43
	v_mad_u64_u32 v[26:27], s[4:5], s3, v72, v[26:27]
	v_add_u32_e32 v36, 0x3e8, v72
	v_fma_f64 v[60:61], v[60:61], 2.0, -v[14:15]
	v_mov_b32_e32 v43, v26
	v_mad_u64_u32 v[26:27], s[4:5], s2, v36, 0
	v_add_co_u32_e32 v4, vcc, v79, v4
	v_mad_u64_u32 v[36:37], s[4:5], s3, v36, v[27:28]
	v_addc_co_u32_e32 v5, vcc, v80, v5, vcc
	v_add_u32_e32 v37, 0x7d0, v72
	global_store_dwordx4 v[4:5], v[64:67], off
	v_lshlrev_b64 v[4:5], 4, v[42:43]
	v_mad_u64_u32 v[42:43], s[4:5], s2, v37, 0
	v_add_co_u32_e32 v4, vcc, v79, v4
	v_addc_co_u32_e32 v5, vcc, v80, v5, vcc
	v_mov_b32_e32 v27, v36
	global_store_dwordx4 v[4:5], v[60:63], off
	v_lshlrev_b64 v[4:5], 4, v[26:27]
	v_mov_b32_e32 v26, v43
	v_mad_u64_u32 v[26:27], s[4:5], s3, v37, v[26:27]
	v_add_co_u32_e32 v4, vcc, v79, v4
	v_addc_co_u32_e32 v5, vcc, v80, v5, vcc
	v_add_u32_e32 v36, 0xbb8, v72
	global_store_dwordx4 v[4:5], v[38:41], off
	v_mov_b32_e32 v43, v26
	v_mad_u64_u32 v[26:27], s[4:5], s2, v36, 0
	v_add_u32_e32 v38, 0x190, v92
	v_mul_hi_u32 v39, v38, s0
	v_mad_u64_u32 v[36:37], s[4:5], s3, v36, v[27:28]
	v_lshlrev_b64 v[4:5], 4, v[42:43]
	v_lshrrev_b32_e32 v27, 6, v39
	v_mul_u32_u24_e32 v37, 0x3e8, v27
	v_add_co_u32_e32 v4, vcc, v79, v4
	v_sub_u32_e32 v37, v38, v37
	v_addc_co_u32_e32 v5, vcc, v80, v5, vcc
	v_mad_u32_u24 v39, v27, s1, v37
	v_mov_b32_e32 v27, v36
	v_mad_u64_u32 v[37:38], s[4:5], s2, v39, 0
	global_store_dwordx4 v[4:5], v[14:17], off
	v_lshlrev_b64 v[4:5], 4, v[26:27]
	v_mov_b32_e32 v14, v38
	v_add_co_u32_e32 v4, vcc, v79, v4
	v_addc_co_u32_e32 v5, vcc, v80, v5, vcc
	global_store_dwordx4 v[4:5], v[10:13], off
	v_mad_u64_u32 v[14:15], s[4:5], s3, v39, v[14:15]
	v_add_u32_e32 v12, 0x3e8, v39
	v_mad_u64_u32 v[10:11], s[4:5], s2, v12, 0
	v_mov_b32_e32 v38, v14
	v_add_u32_e32 v14, 0x7d0, v39
	v_mad_u64_u32 v[11:12], s[4:5], s3, v12, v[11:12]
	v_lshlrev_b64 v[4:5], 4, v[37:38]
	v_mad_u64_u32 v[12:13], s[4:5], s2, v14, 0
	v_add_co_u32_e32 v4, vcc, v79, v4
	v_addc_co_u32_e32 v5, vcc, v80, v5, vcc
	global_store_dwordx4 v[4:5], v[56:59], off
	v_lshlrev_b64 v[4:5], 4, v[10:11]
	v_mov_b32_e32 v10, v13
	v_mad_u64_u32 v[10:11], s[4:5], s3, v14, v[10:11]
	v_add_co_u32_e32 v4, vcc, v79, v4
	v_addc_co_u32_e32 v5, vcc, v80, v5, vcc
	v_mov_b32_e32 v13, v10
	global_store_dwordx4 v[4:5], v[32:35], off
	v_lshlrev_b64 v[4:5], 4, v[12:13]
	v_add_u32_e32 v12, 0xbb8, v39
	v_mad_u64_u32 v[10:11], s[4:5], s2, v12, 0
	v_add_u32_e32 v13, 0x258, v92
	v_mul_hi_u32 v14, v13, s0
	v_mad_u64_u32 v[11:12], s[4:5], s3, v12, v[11:12]
	v_add_co_u32_e32 v4, vcc, v79, v4
	v_lshrrev_b32_e32 v12, 6, v14
	v_mul_u32_u24_e32 v14, 0x3e8, v12
	v_sub_u32_e32 v13, v13, v14
	v_mad_u32_u24 v14, v12, s1, v13
	v_mad_u64_u32 v[12:13], s[4:5], s2, v14, 0
	v_addc_co_u32_e32 v5, vcc, v80, v5, vcc
	global_store_dwordx4 v[4:5], v[86:89], off
	v_lshlrev_b64 v[4:5], 4, v[10:11]
	v_mov_b32_e32 v10, v13
	v_mad_u64_u32 v[10:11], s[4:5], s3, v14, v[10:11]
	v_add_co_u32_e32 v4, vcc, v79, v4
	v_addc_co_u32_e32 v5, vcc, v80, v5, vcc
	v_mov_b32_e32 v13, v10
	global_store_dwordx4 v[4:5], v[52:55], off
	v_lshlrev_b64 v[4:5], 4, v[12:13]
	v_add_u32_e32 v12, 0x3e8, v14
	v_mad_u64_u32 v[10:11], s[4:5], s2, v12, 0
	v_add_u32_e32 v15, 0x7d0, v14
	v_add_co_u32_e32 v4, vcc, v79, v4
	v_mad_u64_u32 v[11:12], s[4:5], s3, v12, v[11:12]
	v_mad_u64_u32 v[12:13], s[4:5], s2, v15, 0
	v_addc_co_u32_e32 v5, vcc, v80, v5, vcc
	global_store_dwordx4 v[4:5], v[44:47], off
	v_lshlrev_b64 v[4:5], 4, v[10:11]
	v_mov_b32_e32 v10, v13
	v_mad_u64_u32 v[10:11], s[4:5], s3, v15, v[10:11]
	v_add_co_u32_e32 v4, vcc, v79, v4
	v_addc_co_u32_e32 v5, vcc, v80, v5, vcc
	v_mov_b32_e32 v13, v10
	global_store_dwordx4 v[4:5], v[48:51], off
	v_lshlrev_b64 v[4:5], 4, v[12:13]
	v_add_u32_e32 v12, 0xbb8, v14
	v_mad_u64_u32 v[10:11], s[4:5], s2, v12, 0
	v_add_co_u32_e32 v4, vcc, v79, v4
	v_mad_u64_u32 v[11:12], s[4:5], s3, v12, v[11:12]
	v_add_u32_e32 v12, 0x320, v92
	v_mul_hi_u32 v13, v12, s0
	v_addc_co_u32_e32 v5, vcc, v80, v5, vcc
	global_store_dwordx4 v[4:5], v[75:78], off
	v_lshlrev_b64 v[4:5], 4, v[10:11]
	v_lshrrev_b32_e32 v10, 6, v13
	v_mul_u32_u24_e32 v11, 0x3e8, v10
	v_sub_u32_e32 v11, v12, v11
	v_mad_u32_u24 v14, v10, s1, v11
	v_mad_u64_u32 v[10:11], s[0:1], s2, v14, 0
	v_add_u32_e32 v15, 0x3e8, v14
	v_add_co_u32_e32 v4, vcc, v79, v4
	v_mad_u64_u32 v[11:12], s[0:1], s3, v14, v[11:12]
	v_mad_u64_u32 v[12:13], s[0:1], s2, v15, 0
	v_addc_co_u32_e32 v5, vcc, v80, v5, vcc
	global_store_dwordx4 v[4:5], v[28:31], off
	v_lshlrev_b64 v[4:5], 4, v[10:11]
	v_mov_b32_e32 v10, v13
	v_mad_u64_u32 v[10:11], s[0:1], s3, v15, v[10:11]
	v_add_co_u32_e32 v4, vcc, v79, v4
	v_addc_co_u32_e32 v5, vcc, v80, v5, vcc
	v_mov_b32_e32 v13, v10
	global_store_dwordx4 v[4:5], v[22:25], off
	v_lshlrev_b64 v[4:5], 4, v[12:13]
	v_add_u32_e32 v12, 0x7d0, v14
	v_mad_u64_u32 v[10:11], s[0:1], s2, v12, 0
	v_add_u32_e32 v14, 0xbb8, v14
	v_add_co_u32_e32 v4, vcc, v79, v4
	v_mad_u64_u32 v[11:12], s[0:1], s3, v12, v[11:12]
	v_mad_u64_u32 v[12:13], s[0:1], s2, v14, 0
	v_addc_co_u32_e32 v5, vcc, v80, v5, vcc
	global_store_dwordx4 v[4:5], v[18:21], off
	v_lshlrev_b64 v[4:5], 4, v[10:11]
	v_mov_b32_e32 v10, v13
	v_mad_u64_u32 v[10:11], s[0:1], s3, v14, v[10:11]
	v_add_co_u32_e32 v4, vcc, v79, v4
	v_addc_co_u32_e32 v5, vcc, v80, v5, vcc
	v_mov_b32_e32 v13, v10
	global_store_dwordx4 v[4:5], v[6:9], off
	v_lshlrev_b64 v[4:5], 4, v[12:13]
	v_add_co_u32_e32 v4, vcc, v79, v4
	v_addc_co_u32_e32 v5, vcc, v80, v5, vcc
	global_store_dwordx4 v[4:5], v[0:3], off
.LBB0_15:
	s_endpgm
	.section	.rodata,"a",@progbits
	.p2align	6, 0x0
	.amdhsa_kernel fft_rtc_back_len4000_factors_10_10_10_4_wgs_200_tpt_200_halfLds_dp_op_CI_CI_sbrr_dirReg
		.amdhsa_group_segment_fixed_size 0
		.amdhsa_private_segment_fixed_size 0
		.amdhsa_kernarg_size 104
		.amdhsa_user_sgpr_count 6
		.amdhsa_user_sgpr_private_segment_buffer 1
		.amdhsa_user_sgpr_dispatch_ptr 0
		.amdhsa_user_sgpr_queue_ptr 0
		.amdhsa_user_sgpr_kernarg_segment_ptr 1
		.amdhsa_user_sgpr_dispatch_id 0
		.amdhsa_user_sgpr_flat_scratch_init 0
		.amdhsa_user_sgpr_private_segment_size 0
		.amdhsa_uses_dynamic_stack 0
		.amdhsa_system_sgpr_private_segment_wavefront_offset 0
		.amdhsa_system_sgpr_workgroup_id_x 1
		.amdhsa_system_sgpr_workgroup_id_y 0
		.amdhsa_system_sgpr_workgroup_id_z 0
		.amdhsa_system_sgpr_workgroup_info 0
		.amdhsa_system_vgpr_workitem_id 0
		.amdhsa_next_free_vgpr 148
		.amdhsa_next_free_sgpr 32
		.amdhsa_reserve_vcc 1
		.amdhsa_reserve_flat_scratch 0
		.amdhsa_float_round_mode_32 0
		.amdhsa_float_round_mode_16_64 0
		.amdhsa_float_denorm_mode_32 3
		.amdhsa_float_denorm_mode_16_64 3
		.amdhsa_dx10_clamp 1
		.amdhsa_ieee_mode 1
		.amdhsa_fp16_overflow 0
		.amdhsa_exception_fp_ieee_invalid_op 0
		.amdhsa_exception_fp_denorm_src 0
		.amdhsa_exception_fp_ieee_div_zero 0
		.amdhsa_exception_fp_ieee_overflow 0
		.amdhsa_exception_fp_ieee_underflow 0
		.amdhsa_exception_fp_ieee_inexact 0
		.amdhsa_exception_int_div_zero 0
	.end_amdhsa_kernel
	.text
.Lfunc_end0:
	.size	fft_rtc_back_len4000_factors_10_10_10_4_wgs_200_tpt_200_halfLds_dp_op_CI_CI_sbrr_dirReg, .Lfunc_end0-fft_rtc_back_len4000_factors_10_10_10_4_wgs_200_tpt_200_halfLds_dp_op_CI_CI_sbrr_dirReg
                                        ; -- End function
	.section	.AMDGPU.csdata,"",@progbits
; Kernel info:
; codeLenInByte = 15852
; NumSgprs: 36
; NumVgprs: 148
; ScratchSize: 0
; MemoryBound: 1
; FloatMode: 240
; IeeeMode: 1
; LDSByteSize: 0 bytes/workgroup (compile time only)
; SGPRBlocks: 4
; VGPRBlocks: 36
; NumSGPRsForWavesPerEU: 36
; NumVGPRsForWavesPerEU: 148
; Occupancy: 1
; WaveLimiterHint : 1
; COMPUTE_PGM_RSRC2:SCRATCH_EN: 0
; COMPUTE_PGM_RSRC2:USER_SGPR: 6
; COMPUTE_PGM_RSRC2:TRAP_HANDLER: 0
; COMPUTE_PGM_RSRC2:TGID_X_EN: 1
; COMPUTE_PGM_RSRC2:TGID_Y_EN: 0
; COMPUTE_PGM_RSRC2:TGID_Z_EN: 0
; COMPUTE_PGM_RSRC2:TIDIG_COMP_CNT: 0
	.type	__hip_cuid_2a326e1b5ae41456,@object ; @__hip_cuid_2a326e1b5ae41456
	.section	.bss,"aw",@nobits
	.globl	__hip_cuid_2a326e1b5ae41456
__hip_cuid_2a326e1b5ae41456:
	.byte	0                               ; 0x0
	.size	__hip_cuid_2a326e1b5ae41456, 1

	.ident	"AMD clang version 19.0.0git (https://github.com/RadeonOpenCompute/llvm-project roc-6.4.0 25133 c7fe45cf4b819c5991fe208aaa96edf142730f1d)"
	.section	".note.GNU-stack","",@progbits
	.addrsig
	.addrsig_sym __hip_cuid_2a326e1b5ae41456
	.amdgpu_metadata
---
amdhsa.kernels:
  - .args:
      - .actual_access:  read_only
        .address_space:  global
        .offset:         0
        .size:           8
        .value_kind:     global_buffer
      - .offset:         8
        .size:           8
        .value_kind:     by_value
      - .actual_access:  read_only
        .address_space:  global
        .offset:         16
        .size:           8
        .value_kind:     global_buffer
      - .actual_access:  read_only
        .address_space:  global
        .offset:         24
        .size:           8
        .value_kind:     global_buffer
      - .actual_access:  read_only
        .address_space:  global
        .offset:         32
        .size:           8
        .value_kind:     global_buffer
      - .offset:         40
        .size:           8
        .value_kind:     by_value
      - .actual_access:  read_only
        .address_space:  global
        .offset:         48
        .size:           8
        .value_kind:     global_buffer
      - .actual_access:  read_only
        .address_space:  global
        .offset:         56
        .size:           8
        .value_kind:     global_buffer
      - .offset:         64
        .size:           4
        .value_kind:     by_value
      - .actual_access:  read_only
        .address_space:  global
        .offset:         72
        .size:           8
        .value_kind:     global_buffer
      - .actual_access:  read_only
        .address_space:  global
        .offset:         80
        .size:           8
        .value_kind:     global_buffer
      - .actual_access:  read_only
        .address_space:  global
        .offset:         88
        .size:           8
        .value_kind:     global_buffer
      - .actual_access:  write_only
        .address_space:  global
        .offset:         96
        .size:           8
        .value_kind:     global_buffer
    .group_segment_fixed_size: 0
    .kernarg_segment_align: 8
    .kernarg_segment_size: 104
    .language:       OpenCL C
    .language_version:
      - 2
      - 0
    .max_flat_workgroup_size: 200
    .name:           fft_rtc_back_len4000_factors_10_10_10_4_wgs_200_tpt_200_halfLds_dp_op_CI_CI_sbrr_dirReg
    .private_segment_fixed_size: 0
    .sgpr_count:     36
    .sgpr_spill_count: 0
    .symbol:         fft_rtc_back_len4000_factors_10_10_10_4_wgs_200_tpt_200_halfLds_dp_op_CI_CI_sbrr_dirReg.kd
    .uniform_work_group_size: 1
    .uses_dynamic_stack: false
    .vgpr_count:     148
    .vgpr_spill_count: 0
    .wavefront_size: 64
amdhsa.target:   amdgcn-amd-amdhsa--gfx906
amdhsa.version:
  - 1
  - 2
...

	.end_amdgpu_metadata
